;; amdgpu-corpus repo=ROCm/rocFFT kind=compiled arch=gfx906 opt=O3
	.text
	.amdgcn_target "amdgcn-amd-amdhsa--gfx906"
	.amdhsa_code_object_version 6
	.protected	bluestein_single_back_len2304_dim1_dp_op_CI_CI ; -- Begin function bluestein_single_back_len2304_dim1_dp_op_CI_CI
	.globl	bluestein_single_back_len2304_dim1_dp_op_CI_CI
	.p2align	8
	.type	bluestein_single_back_len2304_dim1_dp_op_CI_CI,@function
bluestein_single_back_len2304_dim1_dp_op_CI_CI: ; @bluestein_single_back_len2304_dim1_dp_op_CI_CI
; %bb.0:
	s_load_dwordx4 s[16:19], s[4:5], 0x28
	s_mov_b64 s[26:27], s[2:3]
	v_mul_u32_u24_e32 v1, 0x156, v0
	s_mov_b64 s[24:25], s[0:1]
	v_add_u32_sdwa v212, s6, v1 dst_sel:DWORD dst_unused:UNUSED_PAD src0_sel:DWORD src1_sel:WORD_1
	v_mov_b32_e32 v213, 0
	s_add_u32 s24, s24, s7
	s_waitcnt lgkmcnt(0)
	v_cmp_gt_u64_e32 vcc, s[16:17], v[212:213]
	s_addc_u32 s25, s25, 0
	s_and_saveexec_b64 s[0:1], vcc
	s_cbranch_execz .LBB0_2
; %bb.1:
	s_load_dwordx4 s[0:3], s[4:5], 0x18
	s_load_dwordx4 s[8:11], s[4:5], 0x0
	s_movk_i32 s6, 0xc0
	v_mul_lo_u16_sdwa v1, v1, s6 dst_sel:DWORD dst_unused:UNUSED_PAD src0_sel:WORD_1 src1_sel:DWORD
	v_sub_u16_e32 v214, v0, v1
	s_waitcnt lgkmcnt(0)
	s_load_dwordx4 s[12:15], s[0:1], 0x0
	v_lshlrev_b32_e32 v213, 4, v214
	v_or_b32_e32 v255, 0x300, v214
	global_load_dwordx4 v[96:99], v213, s[8:9]
	v_or_b32_e32 v221, 0x600, v214
	s_waitcnt lgkmcnt(0)
	v_mad_u64_u32 v[0:1], s[0:1], s14, v212, 0
	v_mad_u64_u32 v[2:3], s[0:1], s12, v214, 0
	s_add_u32 s14, s8, 0x9000
	v_mov_b32_e32 v254, 0x3000
	v_mad_u64_u32 v[4:5], s[0:1], s15, v212, v[1:2]
	s_addc_u32 s15, s9, 0
	s_mul_i32 s7, s13, 0x3000
	v_mad_u64_u32 v[5:6], s[0:1], s13, v214, v[3:4]
	v_mov_b32_e32 v1, v4
	v_lshlrev_b64 v[0:1], 4, v[0:1]
	v_mov_b32_e32 v3, v5
	v_add_co_u32_e32 v10, vcc, s18, v0
	v_mov_b32_e32 v0, s19
	v_addc_co_u32_e32 v11, vcc, v0, v1, vcc
	v_lshlrev_b64 v[0:1], 4, v[2:3]
	v_mov_b32_e32 v2, s9
	v_add_co_u32_e32 v0, vcc, v10, v0
	v_addc_co_u32_e32 v1, vcc, v11, v1, vcc
	v_add_co_u32_e32 v4, vcc, s8, v213
	s_mul_i32 s0, s13, 0x1800
	s_mul_hi_u32 s1, s12, 0x1800
	v_addc_co_u32_e32 v5, vcc, 0, v2, vcc
	s_add_i32 s0, s1, s0
	s_mul_i32 s1, s12, 0x1800
	global_load_dwordx4 v[48:51], v[0:1], off
	v_add_co_u32_e32 v0, vcc, s1, v0
	v_mov_b32_e32 v2, s0
	v_addc_co_u32_e32 v1, vcc, v1, v2, vcc
	v_mad_u64_u32 v[2:3], s[16:17], s12, v255, 0
	s_movk_i32 s17, 0x1000
	v_add_co_u32_e32 v6, vcc, s17, v4
	v_addc_co_u32_e32 v7, vcc, 0, v5, vcc
	global_load_dwordx4 v[100:103], v[6:7], off offset:2048
	v_mad_u64_u32 v[8:9], s[18:19], s13, v255, v[3:4]
	global_load_dwordx4 v[52:55], v[0:1], off
	v_lshlrev_b32_e32 v196, 4, v255
	v_mov_b32_e32 v3, v8
	v_lshlrev_b64 v[2:3], 4, v[2:3]
	v_lshlrev_b32_e32 v215, 4, v221
	v_add_co_u32_e32 v2, vcc, v10, v2
	v_addc_co_u32_e32 v3, vcc, v11, v3, vcc
	global_load_dwordx4 v[56:59], v[2:3], off
	v_mad_u64_u32 v[2:3], s[18:19], s12, v221, 0
	v_mad_u64_u32 v[0:1], s[18:19], s12, v254, v[0:1]
	;; [unrolled: 1-line block ×3, first 2 shown]
	s_movk_i32 s18, 0x4000
	v_add_co_u32_e32 v6, vcc, s18, v4
	v_mov_b32_e32 v3, v8
	v_lshlrev_b64 v[2:3], 4, v[2:3]
	v_addc_co_u32_e32 v7, vcc, 0, v5, vcc
	v_add_co_u32_e32 v2, vcc, v10, v2
	v_add_u32_e32 v1, s7, v1
	v_addc_co_u32_e32 v3, vcc, v11, v3, vcc
	global_load_dwordx4 v[60:63], v[0:1], off
	global_load_dwordx4 v[64:67], v[2:3], off
	v_mad_u64_u32 v[0:1], s[20:21], s12, v254, v[0:1]
	s_movk_i32 s21, 0x7000
	v_add_co_u32_e32 v2, vcc, s21, v4
	v_addc_co_u32_e32 v3, vcc, 0, v5, vcc
	global_load_dwordx4 v[20:23], v[6:7], off offset:2048
	global_load_dwordx4 v[32:35], v[2:3], off offset:2048
	v_add_u32_e32 v1, s7, v1
	v_mov_b32_e32 v6, 0xffff9400
	global_load_dwordx4 v[68:71], v[0:1], off
	v_mad_u64_u32 v[0:1], s[22:23], s12, v6, v[0:1]
	s_mul_i32 s7, s13, 0xffff9400
	s_sub_i32 s7, s7, s12
	v_add_u32_e32 v1, s7, v1
	global_load_dwordx4 v[104:107], v196, s[8:9]
	global_load_dwordx4 v[24:27], v215, s[8:9]
	global_load_dwordx4 v[72:75], v[0:1], off
	global_load_dwordx4 v[28:31], v213, s[8:9] offset:3072
	v_add_co_u32_e32 v0, vcc, s1, v0
	v_mov_b32_e32 v2, s0
	v_addc_co_u32_e32 v1, vcc, v1, v2, vcc
	s_movk_i32 s13, 0x2000
	v_add_co_u32_e32 v2, vcc, s13, v4
	v_addc_co_u32_e32 v3, vcc, 0, v5, vcc
	global_load_dwordx4 v[76:79], v[0:1], off
	global_load_dwordx4 v[36:39], v[2:3], off offset:1024
	v_add_co_u32_e32 v0, vcc, s1, v0
	v_mov_b32_e32 v2, s0
	s_movk_i32 s16, 0x3000
	v_addc_co_u32_e32 v1, vcc, v1, v2, vcc
	v_add_co_u32_e32 v2, vcc, s16, v4
	v_addc_co_u32_e32 v3, vcc, 0, v5, vcc
	global_load_dwordx4 v[80:83], v[0:1], off
	global_load_dwordx4 v[40:43], v[2:3], off offset:3072
	v_add_co_u32_e32 v0, vcc, s1, v0
	v_mov_b32_e32 v2, s0
	v_addc_co_u32_e32 v1, vcc, v1, v2, vcc
	s_movk_i32 s19, 0x5000
	v_add_co_u32_e32 v2, vcc, s19, v4
	v_addc_co_u32_e32 v3, vcc, 0, v5, vcc
	global_load_dwordx4 v[84:87], v[0:1], off
	global_load_dwordx4 v[44:47], v[2:3], off offset:1024
	v_add_co_u32_e32 v0, vcc, s1, v0
	v_mov_b32_e32 v2, s0
	v_addc_co_u32_e32 v1, vcc, v1, v2, vcc
	s_movk_i32 s20, 0x6000
	v_add_co_u32_e32 v2, vcc, s20, v4
	v_addc_co_u32_e32 v3, vcc, 0, v5, vcc
	global_load_dwordx4 v[88:91], v[0:1], off
	global_load_dwordx4 v[16:19], v[2:3], off offset:3072
	v_add_co_u32_e32 v0, vcc, s1, v0
	v_mov_b32_e32 v2, s0
	v_addc_co_u32_e32 v1, vcc, v1, v2, vcc
	s_mov_b32 s12, 0x8000
	global_load_dwordx4 v[92:95], v[0:1], off
	v_add_co_u32_e32 v0, vcc, s12, v4
	v_addc_co_u32_e32 v1, vcc, 0, v5, vcc
	global_load_dwordx4 v[12:15], v[0:1], off offset:1024
	s_waitcnt vmcnt(23)
	buffer_store_dword v96, off, s[24:27], 0 offset:64 ; 4-byte Folded Spill
	s_nop 0
	buffer_store_dword v97, off, s[24:27], 0 offset:68 ; 4-byte Folded Spill
	buffer_store_dword v98, off, s[24:27], 0 offset:72 ; 4-byte Folded Spill
	;; [unrolled: 1-line block ×3, first 2 shown]
	s_waitcnt vmcnt(25)
	buffer_store_dword v100, off, s[24:27], 0 offset:48 ; 4-byte Folded Spill
	s_nop 0
	buffer_store_dword v101, off, s[24:27], 0 offset:52 ; 4-byte Folded Spill
	buffer_store_dword v102, off, s[24:27], 0 offset:56 ; 4-byte Folded Spill
	;; [unrolled: 1-line block ×3, first 2 shown]
	s_load_dwordx4 s[0:3], s[2:3], 0x0
	v_add_co_u32_e32 v136, vcc, s6, v214
	s_mov_b32 s6, 0xe8584caa
	s_mov_b32 s7, 0x3febb67a
	;; [unrolled: 1-line block ×4, first 2 shown]
	s_movk_i32 s22, 0xab
	v_mov_b32_e32 v144, s11
	s_load_dwordx2 s[4:5], s[4:5], 0x38
	s_waitcnt vmcnt(20)
	v_mul_f64 v[8:9], v[66:67], v[26:27]
	v_mul_f64 v[10:11], v[64:65], v[26:27]
	;; [unrolled: 1-line block ×7, first 2 shown]
	v_fma_f64 v[48:49], v[48:49], v[96:97], v[0:1]
	v_fma_f64 v[50:51], v[50:51], v[96:97], -v[2:3]
	v_fma_f64 v[52:53], v[52:53], v[100:101], v[4:5]
	v_fma_f64 v[54:55], v[54:55], v[100:101], -v[6:7]
	ds_write_b128 v213, v[48:51]
	ds_write_b128 v213, v[52:55] offset:6144
	buffer_store_dword v104, off, s[24:27], 0 offset:32 ; 4-byte Folded Spill
	s_nop 0
	buffer_store_dword v105, off, s[24:27], 0 offset:36 ; 4-byte Folded Spill
	buffer_store_dword v106, off, s[24:27], 0 offset:40 ; 4-byte Folded Spill
	;; [unrolled: 1-line block ×3, first 2 shown]
	v_mul_f64 v[4:5], v[62:63], v[22:23]
	v_mul_f64 v[6:7], v[60:61], v[22:23]
	;; [unrolled: 1-line block ×3, first 2 shown]
	v_fma_f64 v[52:53], v[60:61], v[20:21], v[4:5]
	v_fma_f64 v[54:55], v[62:63], v[20:21], -v[6:7]
	v_fma_f64 v[60:61], v[68:69], v[32:33], v[96:97]
	v_fma_f64 v[62:63], v[70:71], v[32:33], -v[98:99]
	s_waitcnt vmcnt(20)
	v_mul_f64 v[4:5], v[78:79], v[38:39]
	v_mul_f64 v[6:7], v[76:77], v[38:39]
	;; [unrolled: 1-line block ×4, first 2 shown]
	v_fma_f64 v[48:49], v[56:57], v[104:105], v[0:1]
	v_fma_f64 v[50:51], v[58:59], v[104:105], -v[2:3]
	v_fma_f64 v[56:57], v[64:65], v[24:25], v[8:9]
	v_fma_f64 v[58:59], v[66:67], v[24:25], -v[10:11]
	ds_write_b128 v213, v[48:51] offset:12288
	ds_write_b128 v213, v[52:55] offset:18432
	;; [unrolled: 1-line block ×4, first 2 shown]
	s_waitcnt vmcnt(12)
	buffer_store_dword v12, off, s[24:27], 0 ; 4-byte Folded Spill
	s_nop 0
	buffer_store_dword v13, off, s[24:27], 0 offset:4 ; 4-byte Folded Spill
	buffer_store_dword v14, off, s[24:27], 0 offset:8 ; 4-byte Folded Spill
	;; [unrolled: 1-line block ×3, first 2 shown]
	v_mul_f64 v[8:9], v[90:91], v[18:19]
	v_mul_f64 v[10:11], v[88:89], v[18:19]
	buffer_store_dword v16, off, s[24:27], 0 offset:16 ; 4-byte Folded Spill
	s_nop 0
	buffer_store_dword v17, off, s[24:27], 0 offset:20 ; 4-byte Folded Spill
	buffer_store_dword v18, off, s[24:27], 0 offset:24 ; 4-byte Folded Spill
	;; [unrolled: 1-line block ×3, first 2 shown]
	v_mul_f64 v[0:1], v[74:75], v[30:31]
	v_mul_f64 v[2:3], v[72:73], v[30:31]
	v_fma_f64 v[52:53], v[76:77], v[36:37], v[4:5]
	v_fma_f64 v[54:55], v[78:79], v[36:37], -v[6:7]
	v_mul_f64 v[4:5], v[86:87], v[46:47]
	v_mul_f64 v[6:7], v[84:85], v[46:47]
	v_fma_f64 v[48:49], v[72:73], v[28:29], v[0:1]
	v_fma_f64 v[50:51], v[74:75], v[28:29], -v[2:3]
	;; [unrolled: 4-line block ×3, first 2 shown]
	v_fma_f64 v[56:57], v[80:81], v[40:41], v[0:1]
	v_fma_f64 v[58:59], v[82:83], v[40:41], -v[2:3]
	v_mul_f64 v[68:69], v[94:95], v[14:15]
	v_mul_f64 v[70:71], v[92:93], v[14:15]
	v_fma_f64 v[64:65], v[88:89], v[16:17], v[8:9]
	v_fma_f64 v[66:67], v[90:91], v[16:17], -v[10:11]
	v_fma_f64 v[68:69], v[92:93], v[12:13], v[68:69]
	v_fma_f64 v[70:71], v[94:95], v[12:13], -v[70:71]
	ds_write_b128 v213, v[48:51] offset:3072
	ds_write_b128 v213, v[52:55] offset:9216
	;; [unrolled: 1-line block ×6, first 2 shown]
	s_waitcnt vmcnt(0) lgkmcnt(0)
	s_barrier
	ds_read_b128 v[48:51], v213
	ds_read_b128 v[52:55], v213 offset:12288
	ds_read_b128 v[56:59], v213 offset:24576
	;; [unrolled: 1-line block ×6, first 2 shown]
	s_waitcnt lgkmcnt(4)
	v_add_f64 v[0:1], v[52:53], v[56:57]
	v_add_f64 v[2:3], v[48:49], v[52:53]
	v_add_f64 v[8:9], v[54:55], -v[58:59]
	s_waitcnt lgkmcnt(1)
	v_add_f64 v[4:5], v[64:65], v[68:69]
	v_add_f64 v[6:7], v[66:67], v[70:71]
	v_add_f64 v[10:11], v[66:67], -v[70:71]
	v_add_f64 v[94:95], v[54:55], v[58:59]
	v_add_f64 v[54:55], v[50:51], v[54:55]
	v_fma_f64 v[0:1], v[0:1], -0.5, v[48:49]
	v_add_f64 v[48:49], v[64:65], -v[68:69]
	v_add_f64 v[2:3], v[2:3], v[56:57]
	v_fma_f64 v[4:5], v[4:5], -0.5, v[60:61]
	v_fma_f64 v[6:7], v[6:7], -0.5, v[62:63]
	ds_read_b128 v[76:79], v213 offset:9216
	ds_read_b128 v[80:83], v213 offset:15360
	;; [unrolled: 1-line block ×4, first 2 shown]
	v_fma_f64 v[92:93], v[8:9], s[6:7], v[0:1]
	v_fma_f64 v[0:1], v[8:9], s[8:9], v[0:1]
	;; [unrolled: 1-line block ×5, first 2 shown]
	v_fma_f64 v[10:11], v[94:95], -0.5, v[50:51]
	v_fma_f64 v[6:7], v[48:49], s[6:7], v[6:7]
	v_add_f64 v[48:49], v[52:53], -v[56:57]
	v_add_f64 v[50:51], v[60:61], v[64:65]
	v_add_f64 v[60:61], v[62:63], v[66:67]
	v_mul_f64 v[56:57], v[96:97], -0.5
	v_mul_f64 v[52:53], v[8:9], s[6:7]
	v_mul_f64 v[62:63], v[4:5], s[8:9]
	v_add_f64 v[66:67], v[54:55], v[58:59]
	v_mul_f64 v[54:55], v[6:7], -0.5
	v_fma_f64 v[94:95], v[48:49], s[8:9], v[10:11]
	v_add_f64 v[64:65], v[50:51], v[68:69]
	v_fma_f64 v[10:11], v[48:49], s[6:7], v[10:11]
	ds_read_b128 v[48:51], v213 offset:33792
	v_fma_f64 v[4:5], v[4:5], 0.5, v[52:53]
	v_fma_f64 v[6:7], v[6:7], s[6:7], v[56:57]
	s_waitcnt lgkmcnt(1)
	v_add_f64 v[98:99], v[80:81], v[88:89]
	v_add_f64 v[70:71], v[60:61], v[70:71]
	s_waitcnt lgkmcnt(0)
	v_add_f64 v[100:101], v[84:85], v[48:49]
	v_add_f64 v[102:103], v[86:87], v[50:51]
	;; [unrolled: 1-line block ×3, first 2 shown]
	v_add_f64 v[64:65], v[2:3], -v[64:65]
	v_add_f64 v[56:57], v[92:93], v[4:5]
	v_add_f64 v[60:61], v[0:1], v[6:7]
	v_add_f64 v[68:69], v[92:93], -v[4:5]
	v_add_f64 v[92:93], v[0:1], -v[6:7]
	v_add_f64 v[0:1], v[72:73], v[80:81]
	v_fma_f64 v[2:3], v[98:99], -0.5, v[72:73]
	v_add_f64 v[4:5], v[82:83], -v[90:91]
	v_fma_f64 v[6:7], v[100:101], -0.5, v[76:77]
	v_fma_f64 v[72:73], v[102:103], -0.5, v[78:79]
	v_add_f64 v[98:99], v[84:85], -v[48:49]
	v_add_f64 v[100:101], v[86:87], -v[50:51]
	v_fma_f64 v[96:97], v[96:97], s[8:9], v[54:55]
	v_add_f64 v[54:55], v[66:67], v[70:71]
	v_add_f64 v[102:103], v[82:83], v[90:91]
	v_add_f64 v[66:67], v[66:67], -v[70:71]
	v_add_f64 v[70:71], v[74:75], v[82:83]
	v_fma_f64 v[104:105], v[4:5], s[6:7], v[2:3]
	v_fma_f64 v[2:3], v[4:5], s[8:9], v[2:3]
	;; [unrolled: 1-line block ×6, first 2 shown]
	v_fma_f64 v[74:75], v[102:103], -0.5, v[74:75]
	v_add_f64 v[80:81], v[80:81], -v[88:89]
	v_add_f64 v[90:91], v[70:71], v[90:91]
	v_add_f64 v[70:71], v[76:77], v[84:85]
	;; [unrolled: 1-line block ×3, first 2 shown]
	v_mul_f64 v[76:77], v[4:5], s[6:7]
	v_mul_f64 v[86:87], v[6:7], s[8:9]
	v_add_f64 v[0:1], v[0:1], v[88:89]
	v_mul_f64 v[84:85], v[82:83], -0.5
	v_mul_f64 v[88:89], v[72:73], -0.5
	v_fma_f64 v[98:99], v[80:81], s[8:9], v[74:75]
	v_fma_f64 v[100:101], v[80:81], s[6:7], v[74:75]
	v_add_f64 v[80:81], v[70:71], v[48:49]
	v_add_f64 v[106:107], v[78:79], v[50:51]
	v_fma_f64 v[8:9], v[8:9], 0.5, v[62:63]
	v_fma_f64 v[6:7], v[6:7], 0.5, v[76:77]
	;; [unrolled: 1-line block ×3, first 2 shown]
	v_fma_f64 v[102:103], v[72:73], s[6:7], v[84:85]
	v_fma_f64 v[108:109], v[82:83], s[8:9], v[88:89]
	v_add_f64 v[62:63], v[10:11], v[96:97]
	v_add_f64 v[48:49], v[0:1], v[80:81]
	;; [unrolled: 1-line block ×8, first 2 shown]
	v_add_f64 v[80:81], v[0:1], -v[80:81]
	v_add_f64 v[82:83], v[90:91], -v[106:107]
	;; [unrolled: 1-line block ×8, first 2 shown]
	v_mul_lo_u16_e32 v0, 6, v214
	v_lshlrev_b32_e32 v219, 4, v0
	v_mul_u32_u24_e32 v0, 6, v136
	v_lshlrev_b32_e32 v220, 4, v0
	v_mul_lo_u16_sdwa v0, v214, s22 dst_sel:DWORD dst_unused:UNUSED_PAD src0_sel:BYTE_0 src1_sel:DWORD
	s_barrier
	ds_write_b128 v219, v[52:55]
	ds_write_b128 v219, v[56:59] offset:16
	ds_write_b128 v219, v[60:63] offset:32
	;; [unrolled: 1-line block ×5, first 2 shown]
	ds_write_b128 v220, v[48:51]
	ds_write_b128 v220, v[72:75] offset:16
	ds_write_b128 v220, v[76:79] offset:32
	;; [unrolled: 1-line block ×5, first 2 shown]
	v_lshrrev_b16_e32 v88, 10, v0
	v_mul_lo_u16_e32 v0, 6, v88
	v_sub_u16_e32 v0, v214, v0
	v_and_b32_e32 v89, 0xff, v0
	v_mov_b32_e32 v0, s10
	s_movk_i32 s22, 0x50
	v_mov_b32_e32 v1, s11
	v_mad_u64_u32 v[0:1], s[22:23], v89, s22, v[0:1]
	s_waitcnt lgkmcnt(0)
	s_barrier
	global_load_dwordx4 v[68:71], v[0:1], off
	global_load_dwordx4 v[64:67], v[0:1], off offset:16
	global_load_dwordx4 v[52:55], v[0:1], off offset:48
	;; [unrolled: 1-line block ×4, first 2 shown]
	s_mov_b32 s22, 0xaaab
	v_mul_u32_u24_sdwa v0, v136, s22 dst_sel:DWORD dst_unused:UNUSED_PAD src0_sel:WORD_0 src1_sel:DWORD
	v_lshrrev_b32_e32 v90, 18, v0
	v_mul_lo_u16_e32 v0, 6, v90
	v_sub_u16_e32 v91, v136, v0
	v_mul_lo_u16_e32 v0, 0x50, v91
	v_add_co_u32_e32 v0, vcc, s10, v0
	v_addc_co_u32_e32 v1, vcc, 0, v144, vcc
	global_load_dwordx4 v[84:87], v[0:1], off
	global_load_dwordx4 v[80:83], v[0:1], off offset:16
	global_load_dwordx4 v[76:79], v[0:1], off offset:32
	;; [unrolled: 1-line block ×4, first 2 shown]
	ds_read_b128 v[92:95], v213
	ds_read_b128 v[96:99], v213 offset:6144
	ds_read_b128 v[100:103], v213 offset:12288
	;; [unrolled: 1-line block ×11, first 2 shown]
	s_waitcnt vmcnt(0) lgkmcnt(0)
	s_barrier
	v_mul_f64 v[0:1], v[98:99], v[70:71]
	v_mul_f64 v[2:3], v[96:97], v[70:71]
	;; [unrolled: 1-line block ×6, first 2 shown]
	v_fma_f64 v[0:1], v[96:97], v[68:69], -v[0:1]
	v_fma_f64 v[2:3], v[98:99], v[68:69], v[2:3]
	v_mul_f64 v[96:97], v[110:111], v[54:55]
	v_fma_f64 v[4:5], v[100:101], v[64:65], -v[4:5]
	v_mul_f64 v[98:99], v[108:109], v[54:55]
	v_fma_f64 v[6:7], v[102:103], v[64:65], v[6:7]
	v_fma_f64 v[8:9], v[104:105], v[60:61], -v[8:9]
	v_mul_f64 v[100:101], v[114:115], v[74:75]
	v_mul_f64 v[102:103], v[112:113], v[74:75]
	;; [unrolled: 1-line block ×3, first 2 shown]
	v_fma_f64 v[10:11], v[106:107], v[60:61], v[10:11]
	v_fma_f64 v[96:97], v[108:109], v[52:53], -v[96:97]
	v_fma_f64 v[98:99], v[110:111], v[52:53], v[98:99]
	v_mul_f64 v[106:107], v[120:121], v[86:87]
	v_mul_f64 v[108:109], v[126:127], v[82:83]
	v_fma_f64 v[100:101], v[112:113], v[72:73], -v[100:101]
	v_fma_f64 v[102:103], v[114:115], v[72:73], v[102:103]
	v_mul_f64 v[110:111], v[124:125], v[82:83]
	v_mul_f64 v[112:113], v[130:131], v[78:79]
	v_fma_f64 v[114:115], v[120:121], v[84:85], -v[104:105]
	v_mul_f64 v[104:105], v[128:129], v[78:79]
	v_fma_f64 v[120:121], v[122:123], v[84:85], v[106:107]
	v_fma_f64 v[122:123], v[124:125], v[80:81], -v[108:109]
	v_mul_f64 v[106:107], v[134:135], v[58:59]
	v_mul_f64 v[108:109], v[132:133], v[58:59]
	v_fma_f64 v[110:111], v[126:127], v[80:81], v[110:111]
	v_fma_f64 v[124:125], v[128:129], v[76:77], -v[112:113]
	v_add_f64 v[112:113], v[4:5], v[96:97]
	v_fma_f64 v[126:127], v[130:131], v[76:77], v[104:105]
	v_add_f64 v[104:105], v[8:9], v[100:101]
	v_add_f64 v[128:129], v[10:11], v[102:103]
	v_fma_f64 v[130:131], v[132:133], v[56:57], -v[106:107]
	v_fma_f64 v[132:133], v[134:135], v[56:57], v[108:109]
	v_mul_f64 v[106:107], v[139:140], v[50:51]
	v_add_f64 v[108:109], v[92:93], v[4:5]
	v_fma_f64 v[92:93], v[112:113], -0.5, v[92:93]
	v_add_f64 v[112:113], v[6:7], -v[98:99]
	v_fma_f64 v[104:105], v[104:105], -0.5, v[0:1]
	v_fma_f64 v[128:129], v[128:129], -0.5, v[2:3]
	v_add_f64 v[134:135], v[8:9], -v[100:101]
	v_add_f64 v[141:142], v[10:11], -v[102:103]
	v_fma_f64 v[145:146], v[137:138], v[48:49], -v[106:107]
	v_mul_f64 v[106:107], v[137:138], v[50:51]
	v_add_f64 v[137:138], v[6:7], v[98:99]
	v_fma_f64 v[147:148], v[112:113], s[6:7], v[92:93]
	v_fma_f64 v[112:113], v[112:113], s[8:9], v[92:93]
	v_add_f64 v[6:7], v[94:95], v[6:7]
	v_fma_f64 v[92:93], v[134:135], s[8:9], v[128:129]
	v_fma_f64 v[149:150], v[141:142], s[8:9], v[104:105]
	;; [unrolled: 1-line block ×3, first 2 shown]
	v_add_f64 v[108:109], v[108:109], v[96:97]
	v_fma_f64 v[104:105], v[141:142], s[6:7], v[104:105]
	v_add_f64 v[4:5], v[4:5], -v[96:97]
	v_add_f64 v[0:1], v[0:1], v[8:9]
	v_add_f64 v[6:7], v[6:7], v[98:99]
	v_mul_f64 v[8:9], v[92:93], s[6:7]
	v_mul_f64 v[96:97], v[149:150], -0.5
	v_mul_f64 v[98:99], v[128:129], -0.5
	v_fma_f64 v[139:140], v[139:140], v[48:49], v[106:107]
	v_fma_f64 v[94:95], v[137:138], -0.5, v[94:95]
	v_add_f64 v[2:3], v[2:3], v[10:11]
	v_mul_f64 v[10:11], v[104:105], s[8:9]
	v_add_f64 v[0:1], v[0:1], v[100:101]
	v_fma_f64 v[8:9], v[104:105], 0.5, v[8:9]
	v_fma_f64 v[128:129], v[128:129], s[6:7], v[96:97]
	v_fma_f64 v[137:138], v[149:150], s[8:9], v[98:99]
	v_add_f64 v[106:107], v[122:123], v[130:131]
	v_add_f64 v[141:142], v[124:125], v[145:146]
	;; [unrolled: 1-line block ×4, first 2 shown]
	v_fma_f64 v[10:11], v[92:93], 0.5, v[10:11]
	v_add_f64 v[92:93], v[108:109], v[0:1]
	v_add_f64 v[96:97], v[147:148], v[8:9]
	;; [unrolled: 1-line block ×3, first 2 shown]
	v_add_f64 v[104:105], v[108:109], -v[0:1]
	v_add_f64 v[108:109], v[147:148], -v[8:9]
	;; [unrolled: 1-line block ×3, first 2 shown]
	v_add_f64 v[0:1], v[116:117], v[122:123]
	v_fma_f64 v[8:9], v[106:107], -0.5, v[116:117]
	v_add_f64 v[116:117], v[110:111], -v[132:133]
	v_fma_f64 v[128:129], v[141:142], -0.5, v[114:115]
	v_fma_f64 v[141:142], v[149:150], -0.5, v[120:121]
	v_add_f64 v[147:148], v[124:125], -v[145:146]
	v_add_f64 v[149:150], v[126:127], -v[139:140]
	v_fma_f64 v[134:135], v[4:5], s[8:9], v[94:95]
	v_fma_f64 v[4:5], v[4:5], s[6:7], v[94:95]
	v_add_f64 v[94:95], v[6:7], v[2:3]
	v_add_f64 v[151:152], v[110:111], v[132:133]
	v_add_f64 v[106:107], v[6:7], -v[2:3]
	v_fma_f64 v[2:3], v[116:117], s[6:7], v[8:9]
	v_add_f64 v[6:7], v[118:119], v[110:111]
	v_fma_f64 v[8:9], v[116:117], s[8:9], v[8:9]
	v_fma_f64 v[110:111], v[147:148], s[8:9], v[141:142]
	;; [unrolled: 1-line block ×5, first 2 shown]
	v_add_f64 v[114:115], v[114:115], v[124:125]
	v_add_f64 v[120:121], v[120:121], v[126:127]
	v_add_f64 v[0:1], v[0:1], v[130:131]
	v_fma_f64 v[118:119], v[151:152], -0.5, v[118:119]
	v_add_f64 v[122:123], v[122:123], -v[130:131]
	v_mul_f64 v[124:125], v[110:111], s[6:7]
	v_mul_f64 v[130:131], v[116:117], -0.5
	v_mul_f64 v[126:127], v[128:129], s[8:9]
	v_add_f64 v[6:7], v[6:7], v[132:133]
	v_mul_f64 v[132:133], v[141:142], -0.5
	v_add_f64 v[145:146], v[114:115], v[145:146]
	v_add_f64 v[139:140], v[120:121], v[139:140]
	v_fma_f64 v[147:148], v[122:123], s[8:9], v[118:119]
	v_fma_f64 v[151:152], v[128:129], 0.5, v[124:125]
	v_fma_f64 v[130:131], v[141:142], s[6:7], v[130:131]
	v_fma_f64 v[141:142], v[110:111], 0.5, v[126:127]
	v_fma_f64 v[149:150], v[122:123], s[6:7], v[118:119]
	v_fma_f64 v[153:154], v[116:117], s[8:9], v[132:133]
	v_add_f64 v[116:117], v[0:1], v[145:146]
	v_add_f64 v[128:129], v[0:1], -v[145:146]
	v_mul_u32_u24_e32 v0, 36, v88
	v_add_lshl_u32 v222, v0, v89, 4
	v_mad_legacy_u16 v0, v90, 36, v91
	v_lshlrev_b32_e32 v223, 4, v0
	v_mov_b32_e32 v0, 57
	v_mul_lo_u16_sdwa v0, v214, v0 dst_sel:DWORD dst_unused:UNUSED_PAD src0_sel:BYTE_0 src1_sel:DWORD
	v_add_f64 v[118:119], v[6:7], v[139:140]
	v_lshrrev_b16_e32 v12, 11, v0
	v_add_f64 v[98:99], v[134:135], v[10:11]
	v_add_f64 v[120:121], v[2:3], v[151:152]
	;; [unrolled: 1-line block ×3, first 2 shown]
	v_mul_lo_u16_e32 v0, 36, v12
	v_add_f64 v[102:103], v[4:5], v[137:138]
	v_add_f64 v[124:125], v[8:9], v[130:131]
	;; [unrolled: 1-line block ×3, first 2 shown]
	v_sub_u16_e32 v0, v214, v0
	v_add_f64 v[114:115], v[4:5], -v[137:138]
	v_add_f64 v[137:138], v[8:9], -v[130:131]
	;; [unrolled: 1-line block ×3, first 2 shown]
	v_and_b32_e32 v13, 0xff, v0
	v_add_f64 v[110:111], v[134:135], -v[10:11]
	v_add_f64 v[132:133], v[2:3], -v[151:152]
	;; [unrolled: 1-line block ×3, first 2 shown]
	v_mad_u64_u32 v[0:1], s[22:23], v13, 48, s[10:11]
	v_add_f64 v[139:140], v[149:150], -v[153:154]
	ds_write_b128 v222, v[92:95]
	ds_write_b128 v222, v[96:99] offset:96
	ds_write_b128 v222, v[100:103] offset:192
	;; [unrolled: 1-line block ×5, first 2 shown]
	ds_write_b128 v223, v[116:119]
	ds_write_b128 v223, v[120:123] offset:96
	ds_write_b128 v223, v[124:127] offset:192
	;; [unrolled: 1-line block ×5, first 2 shown]
	s_waitcnt lgkmcnt(0)
	s_barrier
	global_load_dwordx4 v[88:91], v[0:1], off offset:512
	global_load_dwordx4 v[92:95], v[0:1], off offset:496
	;; [unrolled: 1-line block ×3, first 2 shown]
	s_mov_b32 s22, 0xe38f
	v_mul_u32_u24_sdwa v137, v136, s22 dst_sel:DWORD dst_unused:UNUSED_PAD src0_sel:WORD_0 src1_sel:DWORD
	v_lshrrev_b32_e32 v14, 21, v137
	v_mul_lo_u16_e32 v0, 36, v14
	v_sub_u16_e32 v15, v136, v0
	v_mul_lo_u16_e32 v0, 48, v15
	v_add_co_u32_e32 v0, vcc, s10, v0
	v_addc_co_u32_e32 v1, vcc, 0, v144, vcc
	s_movk_i32 s23, 0x180
	global_load_dwordx4 v[120:123], v[0:1], off offset:480
	global_load_dwordx4 v[104:107], v[0:1], off offset:496
	;; [unrolled: 1-line block ×3, first 2 shown]
	v_add_co_u32_e32 v145, vcc, s23, v214
	v_mul_u32_u24_sdwa v146, v145, s22 dst_sel:DWORD dst_unused:UNUSED_PAD src0_sel:WORD_0 src1_sel:DWORD
	v_lshrrev_b32_e32 v16, 21, v146
	v_mul_lo_u16_e32 v0, 36, v16
	v_sub_u16_e32 v17, v145, v0
	v_mul_lo_u16_e32 v0, 48, v17
	v_add_co_u32_e32 v0, vcc, s10, v0
	v_addc_co_u32_e32 v1, vcc, 0, v144, vcc
	global_load_dwordx4 v[116:119], v[0:1], off offset:480
	global_load_dwordx4 v[112:115], v[0:1], off offset:496
	;; [unrolled: 1-line block ×3, first 2 shown]
	ds_read_b128 v[124:127], v213
	ds_read_b128 v[128:131], v213 offset:9216
	ds_read_b128 v[132:135], v213 offset:18432
	;; [unrolled: 1-line block ×11, first 2 shown]
	s_movk_i32 s22, 0x90
	v_cmp_gt_u16_e32 vcc, s22, v214
	s_waitcnt vmcnt(0) lgkmcnt(0)
	s_barrier
	v_mul_f64 v[8:9], v[140:141], v[90:91]
	v_mul_f64 v[4:5], v[134:135], v[94:95]
	;; [unrolled: 1-line block ×6, first 2 shown]
	v_fma_f64 v[8:9], v[138:139], v[88:89], -v[8:9]
	v_fma_f64 v[4:5], v[132:133], v[92:93], -v[4:5]
	;; [unrolled: 1-line block ×3, first 2 shown]
	v_fma_f64 v[2:3], v[130:131], v[96:97], v[2:3]
	v_fma_f64 v[6:7], v[134:135], v[92:93], v[6:7]
	;; [unrolled: 1-line block ×3, first 2 shown]
	v_mul_f64 v[142:143], v[153:154], v[122:123]
	v_mul_f64 v[179:180], v[151:152], v[122:123]
	;; [unrolled: 1-line block ×6, first 2 shown]
	v_add_f64 v[4:5], v[124:125], -v[4:5]
	v_add_f64 v[6:7], v[126:127], -v[6:7]
	;; [unrolled: 1-line block ×4, first 2 shown]
	v_fma_f64 v[138:139], v[151:152], v[120:121], -v[142:143]
	v_fma_f64 v[140:141], v[153:154], v[120:121], v[179:180]
	v_fma_f64 v[142:143], v[155:156], v[104:105], -v[128:129]
	v_fma_f64 v[151:152], v[157:158], v[104:105], v[130:131]
	v_fma_f64 v[153:154], v[159:160], v[100:101], -v[132:133]
	v_fma_f64 v[155:156], v[161:162], v[100:101], v[134:135]
	v_fma_f64 v[128:129], v[124:125], 2.0, -v[4:5]
	v_fma_f64 v[130:131], v[126:127], 2.0, -v[6:7]
	;; [unrolled: 1-line block ×4, first 2 shown]
	v_mul_f64 v[132:133], v[169:170], v[118:119]
	v_mul_f64 v[134:135], v[167:168], v[118:119]
	v_mul_f64 v[157:158], v[173:174], v[114:115]
	v_mul_f64 v[159:160], v[171:172], v[114:115]
	v_mul_f64 v[161:162], v[177:178], v[110:111]
	v_mul_f64 v[179:180], v[175:176], v[110:111]
	v_add_f64 v[124:125], v[128:129], -v[0:1]
	v_add_f64 v[126:127], v[130:131], -v[2:3]
	v_fma_f64 v[0:1], v[167:168], v[116:117], -v[132:133]
	v_fma_f64 v[2:3], v[169:170], v[116:117], v[134:135]
	v_fma_f64 v[157:158], v[171:172], v[112:113], -v[157:158]
	v_fma_f64 v[159:160], v[173:174], v[112:113], v[159:160]
	;; [unrolled: 2-line block ×3, first 2 shown]
	v_add_f64 v[132:133], v[4:5], -v[10:11]
	v_add_f64 v[134:135], v[6:7], v[8:9]
	v_add_f64 v[8:9], v[147:148], -v[142:143]
	v_add_f64 v[10:11], v[149:150], -v[151:152]
	;; [unrolled: 1-line block ×8, first 2 shown]
	v_fma_f64 v[167:168], v[147:148], 2.0, -v[8:9]
	v_fma_f64 v[169:170], v[149:150], 2.0, -v[10:11]
	;; [unrolled: 1-line block ×8, first 2 shown]
	v_add_f64 v[151:152], v[8:9], -v[151:152]
	v_add_f64 v[153:154], v[10:11], v[142:143]
	v_add_f64 v[147:148], v[167:168], -v[147:148]
	v_add_f64 v[149:150], v[169:170], -v[149:150]
	;; [unrolled: 1-line block ×3, first 2 shown]
	v_add_f64 v[161:162], v[177:178], v[161:162]
	v_add_f64 v[155:156], v[171:172], -v[0:1]
	v_add_f64 v[157:158], v[173:174], -v[2:3]
	v_fma_f64 v[128:129], v[128:129], 2.0, -v[124:125]
	v_fma_f64 v[130:131], v[130:131], 2.0, -v[126:127]
	;; [unrolled: 1-line block ×4, first 2 shown]
	v_mul_u32_u24_e32 v0, 0x90, v12
	v_fma_f64 v[138:139], v[4:5], 2.0, -v[132:133]
	v_fma_f64 v[171:172], v[171:172], 2.0, -v[155:156]
	;; [unrolled: 1-line block ×8, first 2 shown]
	v_add_lshl_u32 v224, v0, v13, 4
	v_mad_legacy_u16 v0, v14, s22, v15
	v_lshlrev_b32_e32 v225, 4, v0
	v_mad_legacy_u16 v0, v16, s22, v17
	v_lshlrev_b32_e32 v226, 4, v0
	v_add_u32_e32 v0, 0xffffff70, v214
	v_cndmask_b32_e32 v12, v0, v214, vcc
	v_mul_i32_i24_e32 v0, 48, v12
	v_mul_hi_i32_i24_e32 v1, 48, v12
	v_add_co_u32_e32 v0, vcc, s10, v0
	v_addc_co_u32_e32 v1, vcc, v144, v1, vcc
	ds_write_b128 v224, v[128:131]
	ds_write_b128 v224, v[138:141] offset:576
	ds_write_b128 v224, v[124:127] offset:1152
	ds_write_b128 v224, v[132:135] offset:1728
	ds_write_b128 v225, v[163:166]
	ds_write_b128 v225, v[167:170] offset:576
	ds_write_b128 v225, v[147:150] offset:1152
	ds_write_b128 v225, v[151:154] offset:1728
	;; [unrolled: 4-line block ×3, first 2 shown]
	s_waitcnt lgkmcnt(0)
	s_barrier
	global_load_dwordx4 v[132:135], v[0:1], off offset:2208
	global_load_dwordx4 v[124:127], v[0:1], off offset:2240
	;; [unrolled: 1-line block ×3, first 2 shown]
	v_lshrrev_b32_e32 v13, 23, v137
	v_mul_lo_u16_e32 v0, 0x90, v13
	v_sub_u16_e32 v14, v136, v0
	v_mul_lo_u16_e32 v0, 48, v14
	v_add_co_u32_e32 v0, vcc, s10, v0
	v_addc_co_u32_e32 v1, vcc, 0, v144, vcc
	global_load_dwordx4 v[156:159], v[0:1], off offset:2208
	global_load_dwordx4 v[140:143], v[0:1], off offset:2224
	;; [unrolled: 1-line block ×3, first 2 shown]
	v_lshrrev_b32_e32 v15, 23, v146
	v_mul_lo_u16_e32 v0, 0x90, v15
	v_sub_u16_e32 v16, v145, v0
	v_mul_lo_u16_e32 v0, 48, v16
	v_add_co_u32_e32 v0, vcc, s10, v0
	v_addc_co_u32_e32 v1, vcc, 0, v144, vcc
	global_load_dwordx4 v[152:155], v[0:1], off offset:2208
	global_load_dwordx4 v[148:151], v[0:1], off offset:2224
	global_load_dwordx4 v[144:147], v[0:1], off offset:2240
	ds_read_b128 v[160:163], v213 offset:9216
	ds_read_b128 v[164:167], v213
	ds_read_b128 v[168:171], v213 offset:18432
	ds_read_b128 v[172:175], v213 offset:27648
	;; [unrolled: 1-line block ×9, first 2 shown]
	s_movk_i32 s22, 0x8f
	v_cmp_lt_u16_e32 vcc, s22, v214
	s_movk_i32 s22, 0x240
	s_waitcnt vmcnt(8) lgkmcnt(10)
	v_mul_f64 v[0:1], v[162:163], v[134:135]
	v_mul_f64 v[2:3], v[160:161], v[134:135]
	s_waitcnt vmcnt(6) lgkmcnt(8)
	v_mul_f64 v[4:5], v[170:171], v[130:131]
	v_mul_f64 v[6:7], v[168:169], v[130:131]
	s_waitcnt lgkmcnt(7)
	v_mul_f64 v[8:9], v[174:175], v[126:127]
	v_mul_f64 v[10:11], v[172:173], v[126:127]
	v_fma_f64 v[0:1], v[160:161], v[132:133], -v[0:1]
	s_waitcnt vmcnt(5) lgkmcnt(5)
	v_mul_f64 v[205:206], v[182:183], v[158:159]
	v_mul_f64 v[207:208], v[180:181], v[158:159]
	v_fma_f64 v[2:3], v[162:163], v[132:133], v[2:3]
	v_fma_f64 v[4:5], v[168:169], v[128:129], -v[4:5]
	v_fma_f64 v[6:7], v[170:171], v[128:129], v[6:7]
	v_fma_f64 v[8:9], v[172:173], v[124:125], -v[8:9]
	v_fma_f64 v[10:11], v[174:175], v[124:125], v[10:11]
	s_waitcnt vmcnt(4) lgkmcnt(4)
	v_mul_f64 v[168:169], v[186:187], v[142:143]
	v_fma_f64 v[172:173], v[180:181], v[156:157], -v[205:206]
	v_fma_f64 v[174:175], v[182:183], v[156:157], v[207:208]
	v_mul_f64 v[170:171], v[184:185], v[142:143]
	s_waitcnt vmcnt(3) lgkmcnt(3)
	v_mul_f64 v[180:181], v[190:191], v[138:139]
	v_mul_f64 v[182:183], v[188:189], v[138:139]
	v_add_f64 v[4:5], v[164:165], -v[4:5]
	v_add_f64 v[6:7], v[166:167], -v[6:7]
	v_add_f64 v[8:9], v[0:1], -v[8:9]
	v_add_f64 v[10:11], v[2:3], -v[10:11]
	ds_read_b128 v[160:163], v213 offset:33792
	v_fma_f64 v[184:185], v[184:185], v[140:141], -v[168:169]
	v_fma_f64 v[186:187], v[186:187], v[140:141], v[170:171]
	v_fma_f64 v[180:181], v[188:189], v[136:137], -v[180:181]
	v_fma_f64 v[182:183], v[190:191], v[136:137], v[182:183]
	v_fma_f64 v[168:169], v[164:165], 2.0, -v[4:5]
	v_fma_f64 v[170:171], v[166:167], 2.0, -v[6:7]
	;; [unrolled: 1-line block ×4, first 2 shown]
	s_waitcnt vmcnt(2) lgkmcnt(2)
	v_mul_f64 v[188:189], v[199:200], v[154:155]
	v_mul_f64 v[190:191], v[197:198], v[154:155]
	s_waitcnt vmcnt(1) lgkmcnt(1)
	v_mul_f64 v[205:206], v[203:204], v[150:151]
	v_mul_f64 v[207:208], v[201:202], v[150:151]
	;; [unrolled: 3-line block ×3, first 2 shown]
	v_add_f64 v[164:165], v[168:169], -v[0:1]
	v_add_f64 v[166:167], v[170:171], -v[2:3]
	v_fma_f64 v[0:1], v[197:198], v[152:153], -v[188:189]
	v_fma_f64 v[2:3], v[199:200], v[152:153], v[190:191]
	v_fma_f64 v[188:189], v[201:202], v[148:149], -v[205:206]
	v_fma_f64 v[190:191], v[203:204], v[148:149], v[207:208]
	;; [unrolled: 2-line block ×3, first 2 shown]
	v_fma_f64 v[160:161], v[168:169], 2.0, -v[164:165]
	v_fma_f64 v[162:163], v[170:171], 2.0, -v[166:167]
	v_add_f64 v[168:169], v[4:5], -v[10:11]
	v_add_f64 v[170:171], v[6:7], v[8:9]
	v_add_f64 v[8:9], v[176:177], -v[184:185]
	v_add_f64 v[10:11], v[178:179], -v[186:187]
	v_add_f64 v[184:185], v[172:173], -v[180:181]
	v_add_f64 v[180:181], v[174:175], -v[182:183]
	v_add_f64 v[205:206], v[192:193], -v[188:189]
	v_add_f64 v[207:208], v[194:195], -v[190:191]
	v_add_f64 v[190:191], v[0:1], -v[197:198]
	v_add_f64 v[188:189], v[2:3], -v[199:200]
	v_fma_f64 v[197:198], v[176:177], 2.0, -v[8:9]
	v_fma_f64 v[199:200], v[178:179], 2.0, -v[10:11]
	;; [unrolled: 1-line block ×8, first 2 shown]
	v_add_f64 v[182:183], v[10:11], v[184:185]
	v_add_f64 v[180:181], v[8:9], -v[180:181]
	v_add_f64 v[176:177], v[197:198], -v[176:177]
	;; [unrolled: 1-line block ×4, first 2 shown]
	v_add_f64 v[190:191], v[207:208], v[190:191]
	v_add_f64 v[184:185], v[201:202], -v[0:1]
	v_add_f64 v[186:187], v[203:204], -v[2:3]
	v_mov_b32_e32 v0, 0x240
	v_cndmask_b32_e32 v0, 0, v0, vcc
	v_fma_f64 v[192:193], v[197:198], 2.0, -v[176:177]
	v_fma_f64 v[194:195], v[199:200], 2.0, -v[178:179]
	v_add_lshl_u32 v227, v12, v0, 4
	v_mad_legacy_u16 v0, v13, s22, v14
	v_fma_f64 v[201:202], v[201:202], 2.0, -v[184:185]
	v_fma_f64 v[203:204], v[203:204], 2.0, -v[186:187]
	;; [unrolled: 1-line block ×8, first 2 shown]
	v_lshlrev_b32_e32 v228, 4, v0
	v_mad_legacy_u16 v0, v15, s22, v16
	v_lshlrev_b32_e32 v229, 4, v0
	v_mad_u64_u32 v[0:1], s[10:11], v214, 48, s[10:11]
	s_movk_i32 s10, 0x23a0
	v_add_co_u32_e32 v2, vcc, s13, v0
	v_addc_co_u32_e32 v3, vcc, 0, v1, vcc
	s_barrier
	ds_write_b128 v227, v[160:163]
	ds_write_b128 v227, v[172:175] offset:2304
	ds_write_b128 v227, v[164:167] offset:4608
	ds_write_b128 v227, v[168:171] offset:6912
	ds_write_b128 v228, v[192:195]
	ds_write_b128 v228, v[197:200] offset:2304
	ds_write_b128 v228, v[176:179] offset:4608
	ds_write_b128 v228, v[180:183] offset:6912
	;; [unrolled: 4-line block ×3, first 2 shown]
	s_waitcnt lgkmcnt(0)
	s_barrier
	global_load_dwordx4 v[160:163], v[2:3], off offset:928
	v_add_co_u32_e32 v2, vcc, s10, v0
	v_addc_co_u32_e32 v3, vcc, 0, v1, vcc
	global_load_dwordx4 v[168:171], v[2:3], off offset:16
	global_load_dwordx4 v[164:167], v[2:3], off offset:32
	v_add_co_u32_e32 v2, vcc, s18, v0
	v_addc_co_u32_e32 v3, vcc, 0, v1, vcc
	global_load_dwordx4 v[184:187], v[2:3], off offset:1952
	s_movk_i32 s10, 0x47a0
	v_add_co_u32_e32 v2, vcc, s10, v0
	v_addc_co_u32_e32 v3, vcc, 0, v1, vcc
	global_load_dwordx4 v[176:179], v[2:3], off offset:16
	global_load_dwordx4 v[172:175], v[2:3], off offset:32
	v_add_co_u32_e32 v2, vcc, s20, v0
	v_addc_co_u32_e32 v3, vcc, 0, v1, vcc
	global_load_dwordx4 v[180:183], v[2:3], off offset:2976
	ds_read_b128 v[188:191], v213 offset:9216
	ds_read_b128 v[192:195], v213 offset:18432
	;; [unrolled: 1-line block ×5, first 2 shown]
	s_movk_i32 s10, 0x6ba0
	v_add_co_u32_e32 v0, vcc, s10, v0
	v_addc_co_u32_e32 v1, vcc, 0, v1, vcc
	s_waitcnt vmcnt(6) lgkmcnt(4)
	v_mul_f64 v[2:3], v[190:191], v[162:163]
	v_mul_f64 v[4:5], v[188:189], v[162:163]
	s_waitcnt vmcnt(5) lgkmcnt(3)
	v_mul_f64 v[6:7], v[194:195], v[170:171]
	v_mul_f64 v[8:9], v[192:193], v[170:171]
	;; [unrolled: 3-line block ×3, first 2 shown]
	v_fma_f64 v[2:3], v[188:189], v[160:161], -v[2:3]
	v_fma_f64 v[4:5], v[190:191], v[160:161], v[4:5]
	ds_read_b128 v[188:191], v213 offset:30720
	v_fma_f64 v[6:7], v[192:193], v[168:169], -v[6:7]
	v_fma_f64 v[8:9], v[194:195], v[168:169], v[8:9]
	s_waitcnt vmcnt(3) lgkmcnt(2)
	v_mul_f64 v[192:193], v[203:204], v[186:187]
	v_mul_f64 v[194:195], v[201:202], v[186:187]
	v_fma_f64 v[10:11], v[197:198], v[164:165], -v[10:11]
	s_waitcnt vmcnt(2) lgkmcnt(1)
	v_mul_f64 v[197:198], v[207:208], v[178:179]
	v_fma_f64 v[209:210], v[199:200], v[164:165], v[209:210]
	v_mul_f64 v[199:200], v[205:206], v[178:179]
	v_fma_f64 v[216:217], v[201:202], v[184:185], -v[192:193]
	v_fma_f64 v[230:231], v[203:204], v[184:185], v[194:195]
	ds_read_b128 v[192:195], v213 offset:15360
	s_waitcnt vmcnt(1) lgkmcnt(1)
	v_mul_f64 v[201:202], v[190:191], v[174:175]
	v_mul_f64 v[203:204], v[188:189], v[174:175]
	v_fma_f64 v[232:233], v[205:206], v[176:177], -v[197:198]
	v_fma_f64 v[234:235], v[207:208], v[176:177], v[199:200]
	v_add_f64 v[10:11], v[2:3], -v[10:11]
	v_add_f64 v[205:206], v[4:5], -v[209:210]
	v_fma_f64 v[236:237], v[188:189], v[172:173], -v[201:202]
	v_fma_f64 v[238:239], v[190:191], v[172:173], v[203:204]
	s_waitcnt vmcnt(0) lgkmcnt(0)
	v_mul_f64 v[188:189], v[194:195], v[182:183]
	v_mul_f64 v[190:191], v[192:193], v[182:183]
	v_fma_f64 v[2:3], v[2:3], 2.0, -v[10:11]
	v_fma_f64 v[4:5], v[4:5], 2.0, -v[205:206]
	v_fma_f64 v[240:241], v[192:193], v[180:181], -v[188:189]
	v_fma_f64 v[242:243], v[194:195], v[180:181], v[190:191]
	global_load_dwordx4 v[188:191], v[0:1], off offset:16
	ds_read_b128 v[192:195], v213 offset:24576
	s_waitcnt vmcnt(0) lgkmcnt(0)
	v_mul_f64 v[197:198], v[194:195], v[190:191]
	v_fma_f64 v[244:245], v[192:193], v[188:189], -v[197:198]
	v_mul_f64 v[192:193], v[192:193], v[190:191]
	ds_read_b128 v[197:200], v213 offset:33792
	v_fma_f64 v[246:247], v[194:195], v[188:189], v[192:193]
	global_load_dwordx4 v[192:195], v[0:1], off offset:32
	s_waitcnt vmcnt(0) lgkmcnt(0)
	v_mul_f64 v[0:1], v[199:200], v[194:195]
	v_fma_f64 v[0:1], v[197:198], v[192:193], -v[0:1]
	v_mul_f64 v[197:198], v[197:198], v[194:195]
	v_add_f64 v[0:1], v[240:241], -v[0:1]
	v_fma_f64 v[248:249], v[199:200], v[192:193], v[197:198]
	ds_read_b128 v[197:200], v213
	s_waitcnt lgkmcnt(0)
	v_add_f64 v[6:7], v[197:198], -v[6:7]
	v_add_f64 v[8:9], v[199:200], -v[8:9]
	v_fma_f64 v[201:202], v[197:198], 2.0, -v[6:7]
	v_fma_f64 v[203:204], v[199:200], 2.0, -v[8:9]
	v_add_f64 v[197:198], v[201:202], -v[2:3]
	v_add_f64 v[199:200], v[203:204], -v[4:5]
	v_fma_f64 v[201:202], v[201:202], 2.0, -v[197:198]
	v_fma_f64 v[203:204], v[203:204], 2.0, -v[199:200]
	ds_write_b128 v213, v[201:204]
	v_add_f64 v[201:202], v[6:7], -v[205:206]
	v_add_f64 v[203:204], v[8:9], v[10:11]
	v_add_f64 v[10:11], v[216:217], -v[236:237]
	v_fma_f64 v[205:206], v[6:7], 2.0, -v[201:202]
	v_fma_f64 v[207:208], v[8:9], 2.0, -v[203:204]
	ds_write_b128 v213, v[205:208] offset:9216
	ds_write_b128 v213, v[197:200] offset:18432
	;; [unrolled: 1-line block ×3, first 2 shown]
	ds_read_b128 v[197:200], v213 offset:3072
	v_add_f64 v[205:206], v[230:231], -v[238:239]
	s_waitcnt lgkmcnt(0)
	v_add_f64 v[2:3], v[197:198], -v[232:233]
	v_add_f64 v[4:5], v[199:200], -v[234:235]
	v_fma_f64 v[6:7], v[197:198], 2.0, -v[2:3]
	v_fma_f64 v[8:9], v[199:200], 2.0, -v[4:5]
	;; [unrolled: 1-line block ×4, first 2 shown]
	v_add_f64 v[216:217], v[242:243], -v[248:249]
	v_add_f64 v[207:208], v[4:5], v[10:11]
	v_add_f64 v[205:206], v[2:3], -v[205:206]
	v_add_f64 v[197:198], v[6:7], -v[197:198]
	;; [unrolled: 1-line block ×3, first 2 shown]
	v_fma_f64 v[236:237], v[4:5], 2.0, -v[207:208]
	v_fma_f64 v[234:235], v[2:3], 2.0, -v[205:206]
	;; [unrolled: 1-line block ×4, first 2 shown]
	ds_write_b128 v213, v[201:204] offset:3072
	ds_read_b128 v[201:204], v213 offset:6144
	s_waitcnt lgkmcnt(0)
	v_add_f64 v[6:7], v[201:202], -v[244:245]
	v_add_f64 v[8:9], v[203:204], -v[246:247]
	v_fma_f64 v[10:11], v[201:202], 2.0, -v[6:7]
	v_fma_f64 v[209:210], v[203:204], 2.0, -v[8:9]
	;; [unrolled: 1-line block ×4, first 2 shown]
	v_add_f64 v[230:231], v[6:7], -v[216:217]
	v_add_f64 v[232:233], v[8:9], v[0:1]
	v_mov_b32_e32 v0, s15
	v_add_f64 v[201:202], v[10:11], -v[201:202]
	v_add_f64 v[203:204], v[209:210], -v[203:204]
	v_fma_f64 v[242:243], v[6:7], 2.0, -v[230:231]
	v_fma_f64 v[244:245], v[8:9], 2.0, -v[232:233]
	;; [unrolled: 1-line block ×4, first 2 shown]
	ds_write_b128 v213, v[234:237] offset:12288
	ds_write_b128 v213, v[197:200] offset:21504
	;; [unrolled: 1-line block ×7, first 2 shown]
	s_waitcnt lgkmcnt(0)
	s_barrier
	global_load_dwordx4 v[198:201], v213, s[14:15]
	v_add_co_u32_e32 v230, vcc, s14, v213
	v_addc_co_u32_e32 v231, vcc, 0, v0, vcc
	v_add_co_u32_e32 v0, vcc, s17, v230
	v_addc_co_u32_e32 v1, vcc, 0, v231, vcc
	global_load_dwordx4 v[202:205], v[0:1], off offset:2048
	global_load_dwordx4 v[206:209], v196, s[14:15]
	v_add_co_u32_e32 v0, vcc, s18, v230
	v_addc_co_u32_e32 v1, vcc, 0, v231, vcc
	global_load_dwordx4 v[232:235], v[0:1], off offset:2048
	ds_read_b128 v[236:239], v213
	ds_read_b128 v[248:251], v213 offset:3072
	ds_read_b128 v[242:245], v213 offset:30720
	s_waitcnt vmcnt(3) lgkmcnt(2)
	v_mul_f64 v[0:1], v[238:239], v[200:201]
	v_mul_f64 v[2:3], v[236:237], v[200:201]
	v_fma_f64 v[196:197], v[236:237], v[198:199], -v[0:1]
	v_fma_f64 v[198:199], v[238:239], v[198:199], v[2:3]
	ds_read_b128 v[236:239], v213 offset:6144
	s_waitcnt vmcnt(2) lgkmcnt(0)
	v_mul_f64 v[0:1], v[238:239], v[204:205]
	v_mul_f64 v[2:3], v[236:237], v[204:205]
	v_fma_f64 v[200:201], v[236:237], v[202:203], -v[0:1]
	v_fma_f64 v[202:203], v[238:239], v[202:203], v[2:3]
	ds_read_b128 v[236:239], v213 offset:12288
	s_waitcnt vmcnt(1) lgkmcnt(0)
	v_mul_f64 v[0:1], v[238:239], v[208:209]
	v_mul_f64 v[2:3], v[236:237], v[208:209]
	ds_read_b128 v[208:211], v213 offset:18432
	v_fma_f64 v[204:205], v[236:237], v[206:207], -v[0:1]
	v_fma_f64 v[206:207], v[238:239], v[206:207], v[2:3]
	s_waitcnt vmcnt(0) lgkmcnt(0)
	v_mul_f64 v[0:1], v[210:211], v[234:235]
	v_mul_f64 v[2:3], v[208:209], v[234:235]
	ds_read_b128 v[236:239], v213 offset:24576
	v_fma_f64 v[208:209], v[208:209], v[232:233], -v[0:1]
	v_fma_f64 v[210:211], v[210:211], v[232:233], v[2:3]
	global_load_dwordx4 v[232:235], v215, s[14:15]
	ds_read_b128 v[215:218], v213 offset:9216
	s_waitcnt vmcnt(0) lgkmcnt(1)
	v_mul_f64 v[0:1], v[238:239], v[234:235]
	v_mul_f64 v[2:3], v[236:237], v[234:235]
	v_fma_f64 v[234:235], v[236:237], v[232:233], -v[0:1]
	v_add_co_u32_e32 v0, vcc, s21, v230
	v_addc_co_u32_e32 v1, vcc, 0, v231, vcc
	v_fma_f64 v[236:237], v[238:239], v[232:233], v[2:3]
	global_load_dwordx4 v[238:241], v[0:1], off offset:2048
	s_waitcnt vmcnt(0)
	v_mul_f64 v[0:1], v[244:245], v[240:241]
	v_mul_f64 v[2:3], v[242:243], v[240:241]
	v_fma_f64 v[240:241], v[242:243], v[238:239], -v[0:1]
	v_fma_f64 v[242:243], v[244:245], v[238:239], v[2:3]
	global_load_dwordx4 v[244:247], v213, s[14:15] offset:3072
	s_waitcnt vmcnt(0)
	v_mul_f64 v[0:1], v[250:251], v[246:247]
	v_mul_f64 v[2:3], v[248:249], v[246:247]
	v_fma_f64 v[246:247], v[248:249], v[244:245], -v[0:1]
	v_add_co_u32_e32 v0, vcc, s13, v230
	v_addc_co_u32_e32 v1, vcc, 0, v231, vcc
	v_fma_f64 v[248:249], v[250:251], v[244:245], v[2:3]
	global_load_dwordx4 v[250:253], v[0:1], off offset:1024
	s_waitcnt vmcnt(0) lgkmcnt(0)
	v_mul_f64 v[0:1], v[217:218], v[252:253]
	v_mul_f64 v[2:3], v[215:216], v[252:253]
	v_fma_f64 v[215:216], v[215:216], v[250:251], -v[0:1]
	v_add_co_u32_e32 v0, vcc, s16, v230
	v_addc_co_u32_e32 v1, vcc, 0, v231, vcc
	v_fma_f64 v[217:218], v[217:218], v[250:251], v[2:3]
	global_load_dwordx4 v[250:253], v[0:1], off offset:3072
	ds_read_b128 v[0:3], v213 offset:15360
	s_waitcnt vmcnt(0) lgkmcnt(0)
	v_mul_f64 v[4:5], v[2:3], v[252:253]
	v_mul_f64 v[6:7], v[0:1], v[252:253]
	v_fma_f64 v[8:9], v[0:1], v[250:251], -v[4:5]
	v_add_co_u32_e32 v0, vcc, s19, v230
	v_addc_co_u32_e32 v1, vcc, 0, v231, vcc
	v_fma_f64 v[10:11], v[2:3], v[250:251], v[6:7]
	global_load_dwordx4 v[250:253], v[0:1], off offset:1024
	ds_read_b128 v[0:3], v213 offset:21504
	;; [unrolled: 9-line block ×3, first 2 shown]
	v_add_co_u32_e32 v230, vcc, s12, v230
	v_addc_co_u32_e32 v231, vcc, 0, v231, vcc
	s_waitcnt vmcnt(0) lgkmcnt(0)
	v_mul_f64 v[232:233], v[2:3], v[252:253]
	v_mul_f64 v[238:239], v[0:1], v[252:253]
	v_fma_f64 v[0:1], v[0:1], v[250:251], -v[232:233]
	global_load_dwordx4 v[230:233], v[230:231], off offset:1024
	v_fma_f64 v[2:3], v[2:3], v[250:251], v[238:239]
	ds_read_b128 v[250:253], v213 offset:33792
	s_waitcnt vmcnt(0) lgkmcnt(0)
	v_mul_f64 v[238:239], v[252:253], v[232:233]
	v_mul_f64 v[232:233], v[250:251], v[232:233]
	v_fma_f64 v[250:251], v[250:251], v[230:231], -v[238:239]
	v_fma_f64 v[252:253], v[252:253], v[230:231], v[232:233]
	ds_write_b128 v213, v[196:199]
	ds_write_b128 v213, v[200:203] offset:6144
	ds_write_b128 v213, v[204:207] offset:12288
	;; [unrolled: 1-line block ×11, first 2 shown]
	s_waitcnt lgkmcnt(0)
	s_barrier
	ds_read_b128 v[0:3], v213
	ds_read_b128 v[4:7], v213 offset:12288
	ds_read_b128 v[8:11], v213 offset:24576
	;; [unrolled: 1-line block ×4, first 2 shown]
	s_waitcnt lgkmcnt(3)
	v_add_f64 v[204:205], v[0:1], v[4:5]
	v_add_f64 v[208:209], v[2:3], v[6:7]
	s_waitcnt lgkmcnt(2)
	v_add_f64 v[210:211], v[6:7], v[10:11]
	v_add_f64 v[206:207], v[4:5], v[8:9]
	v_add_f64 v[6:7], v[6:7], -v[10:11]
	v_add_f64 v[4:5], v[4:5], -v[8:9]
	v_add_f64 v[204:205], v[204:205], v[8:9]
	v_add_f64 v[10:11], v[208:209], v[10:11]
	v_fma_f64 v[208:209], v[210:211], -0.5, v[2:3]
	s_waitcnt lgkmcnt(0)
	v_add_f64 v[8:9], v[196:197], v[200:201]
	v_add_f64 v[210:211], v[198:199], v[202:203]
	v_fma_f64 v[206:207], v[206:207], -0.5, v[0:1]
	ds_read_b128 v[0:3], v213 offset:6144
	v_fma_f64 v[230:231], v[4:5], s[6:7], v[208:209]
	s_waitcnt lgkmcnt(0)
	v_add_f64 v[215:216], v[0:1], v[196:197]
	v_fma_f64 v[0:1], v[8:9], -0.5, v[0:1]
	v_fma_f64 v[8:9], v[210:211], -0.5, v[2:3]
	v_add_f64 v[196:197], v[196:197], -v[200:201]
	v_add_f64 v[2:3], v[2:3], v[198:199]
	v_add_f64 v[198:199], v[198:199], -v[202:203]
	v_fma_f64 v[208:209], v[4:5], s[8:9], v[208:209]
	v_add_f64 v[200:201], v[215:216], v[200:201]
	v_fma_f64 v[210:211], v[196:197], s[6:7], v[8:9]
	v_fma_f64 v[8:9], v[196:197], s[8:9], v[8:9]
	;; [unrolled: 1-line block ×3, first 2 shown]
	v_add_f64 v[202:203], v[2:3], v[202:203]
	v_fma_f64 v[2:3], v[198:199], s[8:9], v[0:1]
	v_fma_f64 v[198:199], v[198:199], s[6:7], v[0:1]
	;; [unrolled: 1-line block ×3, first 2 shown]
	v_add_f64 v[16:17], v[204:205], v[200:201]
	v_mul_f64 v[215:216], v[210:211], s[8:9]
	v_mul_f64 v[210:211], v[210:211], 0.5
	v_mul_f64 v[217:218], v[8:9], s[8:9]
	v_mul_f64 v[6:7], v[8:9], -0.5
	v_add_f64 v[18:19], v[10:11], v[202:203]
	v_add_f64 v[12:13], v[204:205], -v[200:201]
	v_add_f64 v[14:15], v[10:11], -v[202:203]
	v_fma_f64 v[215:216], v[2:3], 0.5, v[215:216]
	v_fma_f64 v[210:211], v[2:3], s[6:7], v[210:211]
	v_fma_f64 v[217:218], v[198:199], -0.5, v[217:218]
	v_fma_f64 v[232:233], v[198:199], s[6:7], v[6:7]
	v_add_f64 v[8:9], v[196:197], v[215:216]
	v_add_f64 v[10:11], v[230:231], v[210:211]
	v_add_f64 v[196:197], v[196:197], -v[215:216]
	v_add_f64 v[198:199], v[230:231], -v[210:211]
	v_add_f64 v[200:201], v[206:207], v[217:218]
	v_add_f64 v[202:203], v[208:209], v[232:233]
	v_add_f64 v[204:205], v[206:207], -v[217:218]
	v_add_f64 v[206:207], v[208:209], -v[232:233]
	ds_read_b128 v[208:211], v213 offset:3072
	ds_read_b128 v[215:218], v213 offset:15360
	;; [unrolled: 1-line block ×3, first 2 shown]
	s_waitcnt lgkmcnt(1)
	v_add_f64 v[234:235], v[208:209], v[215:216]
	v_add_f64 v[236:237], v[210:211], v[217:218]
	s_waitcnt lgkmcnt(0)
	v_add_f64 v[238:239], v[215:216], v[230:231]
	v_add_f64 v[240:241], v[217:218], -v[232:233]
	v_add_f64 v[242:243], v[217:218], v[232:233]
	v_add_f64 v[244:245], v[215:216], -v[230:231]
	v_add_f64 v[246:247], v[234:235], v[230:231]
	v_add_f64 v[248:249], v[236:237], v[232:233]
	ds_read_b128 v[215:218], v213 offset:9216
	ds_read_b128 v[230:233], v213 offset:21504
	;; [unrolled: 1-line block ×3, first 2 shown]
	v_fma_f64 v[238:239], v[238:239], -0.5, v[208:209]
	v_fma_f64 v[242:243], v[242:243], -0.5, v[210:211]
	s_waitcnt lgkmcnt(0)
	v_add_f64 v[250:251], v[215:216], v[230:231]
	v_add_f64 v[0:1], v[232:233], v[236:237]
	;; [unrolled: 1-line block ×4, first 2 shown]
	v_add_f64 v[6:7], v[230:231], -v[234:235]
	v_add_f64 v[4:5], v[232:233], -v[236:237]
	s_barrier
	v_add_f64 v[230:231], v[250:251], v[234:235]
	v_fma_f64 v[0:1], v[0:1], -0.5, v[217:218]
	v_add_f64 v[232:233], v[252:253], v[236:237]
	v_fma_f64 v[2:3], v[2:3], -0.5, v[215:216]
	v_add_f64 v[208:209], v[246:247], v[230:231]
	v_add_f64 v[215:216], v[246:247], -v[230:231]
	v_fma_f64 v[230:231], v[6:7], s[6:7], v[0:1]
	v_fma_f64 v[0:1], v[6:7], s[8:9], v[0:1]
	v_add_f64 v[210:211], v[248:249], v[232:233]
	v_add_f64 v[217:218], v[248:249], -v[232:233]
	v_fma_f64 v[234:235], v[4:5], s[8:9], v[2:3]
	v_fma_f64 v[2:3], v[4:5], s[6:7], v[2:3]
	;; [unrolled: 1-line block ×4, first 2 shown]
	v_mul_f64 v[232:233], v[230:231], s[8:9]
	v_mul_f64 v[230:231], v[230:231], 0.5
	v_mul_f64 v[4:5], v[0:1], s[8:9]
	v_mul_f64 v[0:1], v[0:1], -0.5
	v_fma_f64 v[244:245], v[244:245], s[8:9], v[242:243]
	v_fma_f64 v[236:237], v[234:235], 0.5, v[232:233]
	v_fma_f64 v[246:247], v[234:235], s[6:7], v[230:231]
	v_fma_f64 v[234:235], v[240:241], s[8:9], v[238:239]
	v_fma_f64 v[4:5], v[2:3], -0.5, v[4:5]
	v_fma_f64 v[0:1], v[2:3], s[6:7], v[0:1]
	v_add_f64 v[232:233], v[248:249], v[246:247]
	v_add_f64 v[230:231], v[234:235], v[236:237]
	v_add_f64 v[234:235], v[234:235], -v[236:237]
	v_add_f64 v[236:237], v[248:249], -v[246:247]
	v_add_f64 v[238:239], v[6:7], v[4:5]
	v_add_f64 v[240:241], v[244:245], v[0:1]
	v_add_f64 v[242:243], v[6:7], -v[4:5]
	v_add_f64 v[244:245], v[244:245], -v[0:1]
	ds_write_b128 v219, v[16:19]
	ds_write_b128 v219, v[8:11] offset:16
	ds_write_b128 v219, v[200:203] offset:32
	;; [unrolled: 1-line block ×5, first 2 shown]
	ds_write_b128 v220, v[208:211]
	ds_write_b128 v220, v[230:233] offset:16
	ds_write_b128 v220, v[238:241] offset:32
	;; [unrolled: 1-line block ×5, first 2 shown]
	s_waitcnt lgkmcnt(0)
	s_barrier
	ds_read_b128 v[0:3], v213 offset:6144
	ds_read_b128 v[4:7], v213 offset:12288
	ds_read_b128 v[8:11], v213
	ds_read_b128 v[196:199], v213 offset:18432
	ds_read_b128 v[200:203], v213 offset:24576
	s_waitcnt lgkmcnt(4)
	v_mul_f64 v[12:13], v[70:71], v[2:3]
	v_mul_f64 v[14:15], v[70:71], v[0:1]
	s_waitcnt lgkmcnt(3)
	v_mul_f64 v[16:17], v[66:67], v[6:7]
	v_mul_f64 v[18:19], v[66:67], v[4:5]
	;; [unrolled: 3-line block ×3, first 2 shown]
	v_mad_u64_u32 v[70:71], s[10:11], s2, v212, 0
	v_fma_f64 v[12:13], v[68:69], v[0:1], v[12:13]
	v_fma_f64 v[14:15], v[68:69], v[2:3], -v[14:15]
	ds_read_b128 v[0:3], v213 offset:30720
	v_fma_f64 v[16:17], v[64:65], v[4:5], v[16:17]
	v_fma_f64 v[18:19], v[64:65], v[6:7], -v[18:19]
	s_waitcnt lgkmcnt(1)
	v_mul_f64 v[64:65], v[54:55], v[202:203]
	v_mul_f64 v[54:55], v[54:55], v[200:201]
	ds_read_b128 v[4:7], v213 offset:9216
	v_fma_f64 v[66:67], v[60:61], v[196:197], v[66:67]
	v_fma_f64 v[68:69], v[60:61], v[198:199], -v[62:63]
	ds_read_b128 v[60:63], v213 offset:15360
	s_waitcnt lgkmcnt(2)
	v_mul_f64 v[196:197], v[74:75], v[2:3]
	v_mul_f64 v[74:75], v[74:75], v[0:1]
	v_fma_f64 v[64:65], v[52:53], v[200:201], v[64:65]
	s_waitcnt lgkmcnt(1)
	v_mul_f64 v[200:201], v[86:87], v[6:7]
	v_mul_f64 v[86:87], v[86:87], v[4:5]
	v_fma_f64 v[198:199], v[52:53], v[202:203], -v[54:55]
	ds_read_b128 v[52:55], v213 offset:21504
	v_fma_f64 v[196:197], v[72:73], v[0:1], v[196:197]
	v_fma_f64 v[72:73], v[72:73], v[2:3], -v[74:75]
	ds_read_b128 v[0:3], v213 offset:27648
	s_waitcnt lgkmcnt(2)
	v_mul_f64 v[74:75], v[82:83], v[62:63]
	v_mul_f64 v[82:83], v[82:83], v[60:61]
	v_fma_f64 v[200:201], v[84:85], v[4:5], v[200:201]
	v_fma_f64 v[84:85], v[84:85], v[6:7], -v[86:87]
	s_waitcnt lgkmcnt(1)
	v_mul_f64 v[86:87], v[78:79], v[54:55]
	ds_read_b128 v[4:7], v213 offset:33792
	v_mul_f64 v[78:79], v[78:79], v[52:53]
	s_waitcnt lgkmcnt(1)
	v_mul_f64 v[202:203], v[58:59], v[2:3]
	v_fma_f64 v[74:75], v[80:81], v[60:61], v[74:75]
	v_fma_f64 v[62:63], v[80:81], v[62:63], -v[82:83]
	v_mul_f64 v[80:81], v[58:59], v[0:1]
	ds_read_b128 v[58:61], v213 offset:3072
	s_waitcnt lgkmcnt(1)
	v_mul_f64 v[82:83], v[50:51], v[6:7]
	v_fma_f64 v[86:87], v[76:77], v[52:53], v[86:87]
	v_add_f64 v[52:53], v[68:69], v[72:73]
	v_fma_f64 v[54:55], v[76:77], v[54:55], -v[78:79]
	v_fma_f64 v[76:77], v[56:57], v[0:1], v[202:203]
	v_add_f64 v[0:1], v[16:17], v[64:65]
	v_fma_f64 v[56:57], v[56:57], v[2:3], -v[80:81]
	v_add_f64 v[2:3], v[18:19], v[198:199]
	v_fma_f64 v[78:79], v[48:49], v[4:5], v[82:83]
	v_add_f64 v[80:81], v[66:67], v[196:197]
	v_fma_f64 v[52:53], v[52:53], -0.5, v[14:15]
	v_add_f64 v[202:203], v[66:67], -v[196:197]
	v_mul_f64 v[4:5], v[50:51], v[4:5]
	v_add_f64 v[14:15], v[14:15], v[68:69]
	v_add_f64 v[82:83], v[8:9], v[16:17]
	v_fma_f64 v[0:1], v[0:1], -0.5, v[8:9]
	v_add_f64 v[8:9], v[18:19], -v[198:199]
	v_add_f64 v[18:19], v[10:11], v[18:19]
	v_fma_f64 v[2:3], v[2:3], -0.5, v[10:11]
	v_fma_f64 v[10:11], v[80:81], -0.5, v[12:13]
	v_add_f64 v[80:81], v[68:69], -v[72:73]
	v_fma_f64 v[50:51], v[202:203], s[6:7], v[52:53]
	v_add_f64 v[12:13], v[12:13], v[66:67]
	v_add_f64 v[14:15], v[14:15], v[72:73]
	v_fma_f64 v[72:73], v[48:49], v[6:7], -v[4:5]
	v_fma_f64 v[52:53], v[202:203], s[8:9], v[52:53]
	v_add_f64 v[82:83], v[82:83], v[64:65]
	v_add_f64 v[16:17], v[16:17], -v[64:65]
	v_fma_f64 v[64:65], v[80:81], s[8:9], v[10:11]
	v_mul_f64 v[66:67], v[50:51], s[8:9]
	v_mul_f64 v[50:51], v[50:51], 0.5
	v_add_f64 v[18:19], v[18:19], v[198:199]
	v_add_f64 v[12:13], v[12:13], v[196:197]
	;; [unrolled: 1-line block ×4, first 2 shown]
	v_fma_f64 v[10:11], v[80:81], s[6:7], v[10:11]
	v_mul_f64 v[80:81], v[52:53], s[8:9]
	v_fma_f64 v[202:203], v[8:9], s[8:9], v[0:1]
	v_fma_f64 v[68:69], v[8:9], s[6:7], v[0:1]
	;; [unrolled: 1-line block ×3, first 2 shown]
	v_fma_f64 v[66:67], v[64:65], 0.5, v[66:67]
	v_fma_f64 v[64:65], v[64:65], s[6:7], v[50:51]
	v_fma_f64 v[16:17], v[16:17], s[8:9], v[2:3]
	v_add_f64 v[0:1], v[82:83], v[12:13]
	v_add_f64 v[2:3], v[18:19], v[14:15]
	s_waitcnt lgkmcnt(0)
	v_fma_f64 v[204:205], v[48:49], -0.5, v[58:59]
	v_add_f64 v[206:207], v[62:63], -v[56:57]
	v_add_f64 v[48:49], v[82:83], -v[12:13]
	;; [unrolled: 1-line block ×3, first 2 shown]
	v_add_f64 v[14:15], v[86:87], v[78:79]
	v_fma_f64 v[18:19], v[196:197], -0.5, v[84:85]
	v_add_f64 v[82:83], v[86:87], -v[78:79]
	v_fma_f64 v[80:81], v[10:11], -0.5, v[80:81]
	v_add_f64 v[12:13], v[60:61], v[62:63]
	v_add_f64 v[58:59], v[58:59], v[74:75]
	;; [unrolled: 1-line block ×3, first 2 shown]
	v_mul_f64 v[52:53], v[52:53], -0.5
	v_fma_f64 v[208:209], v[206:207], s[8:9], v[204:205]
	v_fma_f64 v[204:205], v[206:207], s[6:7], v[204:205]
	v_fma_f64 v[14:15], v[14:15], -0.5, v[200:201]
	v_fma_f64 v[206:207], v[82:83], s[6:7], v[18:19]
	v_fma_f64 v[18:19], v[82:83], s[8:9], v[18:19]
	v_add_f64 v[82:83], v[54:55], -v[72:73]
	v_add_f64 v[8:9], v[68:69], v[80:81]
	v_add_f64 v[12:13], v[12:13], v[56:57]
	v_add_f64 v[56:57], v[68:69], -v[80:81]
	v_add_f64 v[68:69], v[58:59], v[76:77]
	v_fma_f64 v[58:59], v[62:63], -0.5, v[60:61]
	v_add_f64 v[62:63], v[200:201], v[86:87]
	v_add_f64 v[54:55], v[84:85], v[54:55]
	;; [unrolled: 1-line block ×3, first 2 shown]
	v_fma_f64 v[196:197], v[10:11], s[6:7], v[52:53]
	v_add_f64 v[52:53], v[202:203], -v[66:67]
	v_add_f64 v[60:61], v[74:75], -v[76:77]
	v_fma_f64 v[66:67], v[82:83], s[8:9], v[14:15]
	v_fma_f64 v[14:15], v[82:83], s[6:7], v[14:15]
	v_mul_f64 v[74:75], v[206:207], s[8:9]
	v_mul_f64 v[76:77], v[18:19], s[8:9]
	v_mul_f64 v[80:81], v[206:207], 0.5
	v_mul_f64 v[18:19], v[18:19], -0.5
	v_add_f64 v[78:79], v[62:63], v[78:79]
	v_add_f64 v[202:203], v[54:55], v[72:73]
	v_fma_f64 v[82:83], v[60:61], s[6:7], v[58:59]
	v_fma_f64 v[86:87], v[60:61], s[8:9], v[58:59]
	v_fma_f64 v[84:85], v[66:67], 0.5, v[74:75]
	v_fma_f64 v[200:201], v[14:15], -0.5, v[76:77]
	v_fma_f64 v[206:207], v[66:67], s[6:7], v[80:81]
	v_fma_f64 v[14:15], v[14:15], s[6:7], v[18:19]
	v_add_f64 v[6:7], v[198:199], v[64:65]
	v_add_f64 v[10:11], v[16:17], v[196:197]
	v_add_f64 v[54:55], v[198:199], -v[64:65]
	v_add_f64 v[58:59], v[16:17], -v[196:197]
	v_add_f64 v[60:61], v[68:69], v[78:79]
	v_add_f64 v[62:63], v[12:13], v[202:203]
	;; [unrolled: 1-line block ×6, first 2 shown]
	v_add_f64 v[76:77], v[68:69], -v[78:79]
	v_add_f64 v[80:81], v[208:209], -v[84:85]
	;; [unrolled: 1-line block ×6, first 2 shown]
	s_barrier
	ds_write_b128 v222, v[0:3]
	ds_write_b128 v222, v[4:7] offset:96
	ds_write_b128 v222, v[8:11] offset:192
	;; [unrolled: 1-line block ×5, first 2 shown]
	ds_write_b128 v223, v[60:63]
	ds_write_b128 v223, v[64:67] offset:96
	ds_write_b128 v223, v[72:75] offset:192
	;; [unrolled: 1-line block ×5, first 2 shown]
	s_waitcnt lgkmcnt(0)
	s_barrier
	ds_read_b128 v[0:3], v213
	ds_read_b128 v[4:7], v213 offset:9216
	ds_read_b128 v[8:11], v213 offset:18432
	;; [unrolled: 1-line block ×11, first 2 shown]
	s_waitcnt lgkmcnt(10)
	v_mul_f64 v[12:13], v[98:99], v[6:7]
	v_mul_f64 v[14:15], v[98:99], v[4:5]
	s_waitcnt lgkmcnt(9)
	v_mul_f64 v[16:17], v[94:95], v[10:11]
	v_mul_f64 v[18:19], v[94:95], v[8:9]
	;; [unrolled: 3-line block ×4, first 2 shown]
	v_fma_f64 v[4:5], v[96:97], v[4:5], v[12:13]
	v_fma_f64 v[6:7], v[96:97], v[6:7], -v[14:15]
	v_fma_f64 v[8:9], v[92:93], v[8:9], v[16:17]
	v_fma_f64 v[10:11], v[92:93], v[10:11], -v[18:19]
	;; [unrolled: 2-line block ×4, first 2 shown]
	s_waitcnt lgkmcnt(5)
	v_mul_f64 v[48:49], v[106:107], v[62:63]
	v_mul_f64 v[50:51], v[106:107], v[60:61]
	s_waitcnt lgkmcnt(4)
	v_mul_f64 v[56:57], v[102:103], v[66:67]
	v_mul_f64 v[58:59], v[102:103], v[64:65]
	v_add_f64 v[68:69], v[0:1], -v[8:9]
	v_add_f64 v[88:89], v[2:3], -v[10:11]
	;; [unrolled: 1-line block ×4, first 2 shown]
	v_fma_f64 v[12:13], v[104:105], v[60:61], v[48:49]
	v_fma_f64 v[14:15], v[104:105], v[62:63], -v[50:51]
	v_fma_f64 v[48:49], v[100:101], v[64:65], v[56:57]
	v_fma_f64 v[50:51], v[100:101], v[66:67], -v[58:59]
	v_fma_f64 v[56:57], v[0:1], 2.0, -v[68:69]
	v_fma_f64 v[58:59], v[2:3], 2.0, -v[88:89]
	;; [unrolled: 1-line block ×4, first 2 shown]
	s_waitcnt lgkmcnt(2)
	v_mul_f64 v[4:5], v[118:119], v[78:79]
	v_mul_f64 v[6:7], v[118:119], v[76:77]
	s_waitcnt lgkmcnt(1)
	v_mul_f64 v[60:61], v[114:115], v[82:83]
	v_mul_f64 v[62:63], v[114:115], v[80:81]
	;; [unrolled: 3-line block ×3, first 2 shown]
	v_add_f64 v[0:1], v[56:57], -v[0:1]
	v_add_f64 v[2:3], v[58:59], -v[2:3]
	v_fma_f64 v[76:77], v[116:117], v[76:77], v[4:5]
	v_fma_f64 v[78:79], v[116:117], v[78:79], -v[6:7]
	v_fma_f64 v[60:61], v[112:113], v[80:81], v[60:61]
	v_fma_f64 v[62:63], v[112:113], v[82:83], -v[62:63]
	;; [unrolled: 2-line block ×3, first 2 shown]
	v_fma_f64 v[4:5], v[56:57], 2.0, -v[0:1]
	v_fma_f64 v[6:7], v[58:59], 2.0, -v[2:3]
	v_add_f64 v[12:13], v[52:53], -v[12:13]
	v_add_f64 v[14:15], v[54:55], -v[14:15]
	;; [unrolled: 1-line block ×8, first 2 shown]
	v_fma_f64 v[82:83], v[52:53], 2.0, -v[12:13]
	v_fma_f64 v[90:91], v[54:55], 2.0, -v[14:15]
	;; [unrolled: 1-line block ×8, first 2 shown]
	v_add_f64 v[8:9], v[68:69], v[8:9]
	v_add_f64 v[10:11], v[88:89], -v[10:11]
	v_add_f64 v[52:53], v[82:83], -v[16:17]
	v_add_f64 v[54:55], v[90:91], -v[18:19]
	v_add_f64 v[56:57], v[12:13], v[56:57]
	v_add_f64 v[58:59], v[14:15], -v[58:59]
	v_add_f64 v[60:61], v[92:93], -v[60:61]
	v_add_f64 v[62:63], v[94:95], -v[62:63]
	v_add_f64 v[64:65], v[84:85], v[64:65]
	v_add_f64 v[66:67], v[86:87], -v[80:81]
	v_fma_f64 v[48:49], v[68:69], 2.0, -v[8:9]
	v_fma_f64 v[50:51], v[88:89], 2.0, -v[10:11]
	;; [unrolled: 1-line block ×10, first 2 shown]
	s_barrier
	ds_write_b128 v224, v[4:7]
	ds_write_b128 v224, v[48:51] offset:576
	ds_write_b128 v224, v[0:3] offset:1152
	ds_write_b128 v224, v[8:11] offset:1728
	ds_write_b128 v225, v[72:75]
	ds_write_b128 v225, v[76:79] offset:576
	ds_write_b128 v225, v[52:55] offset:1152
	ds_write_b128 v225, v[56:59] offset:1728
	;; [unrolled: 4-line block ×3, first 2 shown]
	s_waitcnt lgkmcnt(0)
	s_barrier
	ds_read_b128 v[0:3], v213
	ds_read_b128 v[4:7], v213 offset:9216
	ds_read_b128 v[8:11], v213 offset:18432
	;; [unrolled: 1-line block ×11, first 2 shown]
	s_waitcnt lgkmcnt(10)
	v_mul_f64 v[12:13], v[134:135], v[6:7]
	v_mul_f64 v[14:15], v[134:135], v[4:5]
	s_waitcnt lgkmcnt(9)
	v_mul_f64 v[16:17], v[130:131], v[10:11]
	v_mul_f64 v[18:19], v[130:131], v[8:9]
	;; [unrolled: 3-line block ×4, first 2 shown]
	v_fma_f64 v[4:5], v[132:133], v[4:5], v[12:13]
	v_fma_f64 v[6:7], v[132:133], v[6:7], -v[14:15]
	v_fma_f64 v[8:9], v[128:129], v[8:9], v[16:17]
	v_fma_f64 v[10:11], v[128:129], v[10:11], -v[18:19]
	;; [unrolled: 2-line block ×4, first 2 shown]
	s_waitcnt lgkmcnt(5)
	v_mul_f64 v[48:49], v[142:143], v[62:63]
	v_mul_f64 v[50:51], v[142:143], v[60:61]
	s_waitcnt lgkmcnt(4)
	v_mul_f64 v[56:57], v[138:139], v[66:67]
	v_mul_f64 v[58:59], v[138:139], v[64:65]
	v_add_f64 v[68:69], v[0:1], -v[8:9]
	v_add_f64 v[88:89], v[2:3], -v[10:11]
	v_add_f64 v[10:11], v[4:5], -v[12:13]
	v_add_f64 v[8:9], v[6:7], -v[14:15]
	v_fma_f64 v[12:13], v[140:141], v[60:61], v[48:49]
	v_fma_f64 v[14:15], v[140:141], v[62:63], -v[50:51]
	v_fma_f64 v[48:49], v[136:137], v[64:65], v[56:57]
	v_fma_f64 v[50:51], v[136:137], v[66:67], -v[58:59]
	v_fma_f64 v[56:57], v[0:1], 2.0, -v[68:69]
	v_fma_f64 v[58:59], v[2:3], 2.0, -v[88:89]
	;; [unrolled: 1-line block ×4, first 2 shown]
	s_waitcnt lgkmcnt(2)
	v_mul_f64 v[4:5], v[154:155], v[78:79]
	v_mul_f64 v[6:7], v[154:155], v[76:77]
	s_waitcnt lgkmcnt(1)
	v_mul_f64 v[60:61], v[150:151], v[82:83]
	v_mul_f64 v[62:63], v[150:151], v[80:81]
	;; [unrolled: 3-line block ×3, first 2 shown]
	v_add_f64 v[0:1], v[56:57], -v[0:1]
	v_add_f64 v[2:3], v[58:59], -v[2:3]
	v_fma_f64 v[76:77], v[152:153], v[76:77], v[4:5]
	v_fma_f64 v[78:79], v[152:153], v[78:79], -v[6:7]
	v_fma_f64 v[60:61], v[148:149], v[80:81], v[60:61]
	v_fma_f64 v[62:63], v[148:149], v[82:83], -v[62:63]
	;; [unrolled: 2-line block ×3, first 2 shown]
	v_fma_f64 v[4:5], v[56:57], 2.0, -v[0:1]
	v_fma_f64 v[6:7], v[58:59], 2.0, -v[2:3]
	v_add_f64 v[12:13], v[52:53], -v[12:13]
	v_add_f64 v[14:15], v[54:55], -v[14:15]
	;; [unrolled: 1-line block ×8, first 2 shown]
	v_fma_f64 v[82:83], v[52:53], 2.0, -v[12:13]
	v_fma_f64 v[90:91], v[54:55], 2.0, -v[14:15]
	;; [unrolled: 1-line block ×8, first 2 shown]
	v_add_f64 v[8:9], v[68:69], v[8:9]
	v_add_f64 v[10:11], v[88:89], -v[10:11]
	v_add_f64 v[52:53], v[82:83], -v[16:17]
	;; [unrolled: 1-line block ×3, first 2 shown]
	v_add_f64 v[56:57], v[12:13], v[56:57]
	v_add_f64 v[58:59], v[14:15], -v[58:59]
	v_add_f64 v[60:61], v[92:93], -v[60:61]
	;; [unrolled: 1-line block ×3, first 2 shown]
	v_add_f64 v[64:65], v[84:85], v[64:65]
	v_add_f64 v[66:67], v[86:87], -v[80:81]
	v_fma_f64 v[48:49], v[68:69], 2.0, -v[8:9]
	v_fma_f64 v[50:51], v[88:89], 2.0, -v[10:11]
	;; [unrolled: 1-line block ×10, first 2 shown]
	s_barrier
	ds_write_b128 v227, v[4:7]
	ds_write_b128 v227, v[48:51] offset:2304
	ds_write_b128 v227, v[0:3] offset:4608
	ds_write_b128 v227, v[8:11] offset:6912
	ds_write_b128 v228, v[72:75]
	ds_write_b128 v228, v[76:79] offset:2304
	ds_write_b128 v228, v[52:55] offset:4608
	ds_write_b128 v228, v[56:59] offset:6912
	;; [unrolled: 4-line block ×3, first 2 shown]
	s_waitcnt lgkmcnt(0)
	s_barrier
	ds_read_b128 v[0:3], v213
	ds_read_b128 v[4:7], v213 offset:9216
	ds_read_b128 v[8:11], v213 offset:18432
	;; [unrolled: 1-line block ×11, first 2 shown]
	s_waitcnt lgkmcnt(10)
	v_mul_f64 v[12:13], v[162:163], v[6:7]
	v_mul_f64 v[14:15], v[162:163], v[4:5]
	s_waitcnt lgkmcnt(9)
	v_mul_f64 v[16:17], v[170:171], v[10:11]
	v_mul_f64 v[18:19], v[170:171], v[8:9]
	;; [unrolled: 3-line block ×4, first 2 shown]
	v_fma_f64 v[4:5], v[160:161], v[4:5], v[12:13]
	v_fma_f64 v[6:7], v[160:161], v[6:7], -v[14:15]
	v_fma_f64 v[8:9], v[168:169], v[8:9], v[16:17]
	v_fma_f64 v[10:11], v[168:169], v[10:11], -v[18:19]
	;; [unrolled: 2-line block ×4, first 2 shown]
	s_waitcnt lgkmcnt(5)
	v_mul_f64 v[48:49], v[178:179], v[62:63]
	v_mul_f64 v[50:51], v[178:179], v[60:61]
	s_waitcnt lgkmcnt(4)
	v_mul_f64 v[56:57], v[174:175], v[66:67]
	v_mul_f64 v[58:59], v[174:175], v[64:65]
	v_add_f64 v[68:69], v[0:1], -v[8:9]
	v_add_f64 v[88:89], v[2:3], -v[10:11]
	;; [unrolled: 1-line block ×4, first 2 shown]
	v_fma_f64 v[12:13], v[176:177], v[60:61], v[48:49]
	v_fma_f64 v[14:15], v[176:177], v[62:63], -v[50:51]
	v_fma_f64 v[48:49], v[172:173], v[64:65], v[56:57]
	v_fma_f64 v[50:51], v[172:173], v[66:67], -v[58:59]
	v_fma_f64 v[56:57], v[0:1], 2.0, -v[68:69]
	v_fma_f64 v[58:59], v[2:3], 2.0, -v[88:89]
	;; [unrolled: 1-line block ×4, first 2 shown]
	s_waitcnt lgkmcnt(2)
	v_mul_f64 v[4:5], v[182:183], v[78:79]
	v_mul_f64 v[6:7], v[182:183], v[76:77]
	s_waitcnt lgkmcnt(1)
	v_mul_f64 v[60:61], v[190:191], v[82:83]
	v_mul_f64 v[62:63], v[190:191], v[80:81]
	;; [unrolled: 3-line block ×3, first 2 shown]
	v_add_f64 v[0:1], v[56:57], -v[0:1]
	v_add_f64 v[2:3], v[58:59], -v[2:3]
	v_fma_f64 v[76:77], v[180:181], v[76:77], v[4:5]
	v_fma_f64 v[78:79], v[180:181], v[78:79], -v[6:7]
	v_fma_f64 v[60:61], v[188:189], v[80:81], v[60:61]
	v_fma_f64 v[62:63], v[188:189], v[82:83], -v[62:63]
	;; [unrolled: 2-line block ×3, first 2 shown]
	v_fma_f64 v[4:5], v[56:57], 2.0, -v[0:1]
	v_fma_f64 v[6:7], v[58:59], 2.0, -v[2:3]
	v_add_f64 v[12:13], v[52:53], -v[12:13]
	v_add_f64 v[14:15], v[54:55], -v[14:15]
	;; [unrolled: 1-line block ×8, first 2 shown]
	v_fma_f64 v[82:83], v[52:53], 2.0, -v[12:13]
	v_fma_f64 v[90:91], v[54:55], 2.0, -v[14:15]
	v_fma_f64 v[16:17], v[16:17], 2.0, -v[58:59]
	v_fma_f64 v[18:19], v[18:19], 2.0, -v[56:57]
	v_fma_f64 v[92:93], v[72:73], 2.0, -v[84:85]
	v_fma_f64 v[94:95], v[74:75], 2.0, -v[86:87]
	v_fma_f64 v[60:61], v[76:77], 2.0, -v[80:81]
	v_fma_f64 v[62:63], v[78:79], 2.0, -v[64:65]
	v_add_f64 v[8:9], v[68:69], v[8:9]
	v_add_f64 v[10:11], v[88:89], -v[10:11]
	v_add_f64 v[52:53], v[82:83], -v[16:17]
	;; [unrolled: 1-line block ×3, first 2 shown]
	v_add_f64 v[56:57], v[12:13], v[56:57]
	v_add_f64 v[58:59], v[14:15], -v[58:59]
	v_add_f64 v[60:61], v[92:93], -v[60:61]
	v_add_f64 v[62:63], v[94:95], -v[62:63]
	v_add_f64 v[64:65], v[84:85], v[64:65]
	v_add_f64 v[66:67], v[86:87], -v[80:81]
	v_fma_f64 v[48:49], v[68:69], 2.0, -v[8:9]
	v_fma_f64 v[50:51], v[88:89], 2.0, -v[10:11]
	;; [unrolled: 1-line block ×10, first 2 shown]
	ds_write_b128 v213, v[4:7]
	ds_write_b128 v213, v[48:51] offset:9216
	ds_write_b128 v213, v[0:3] offset:18432
	;; [unrolled: 1-line block ×11, first 2 shown]
	s_waitcnt lgkmcnt(0)
	s_barrier
	ds_read_b128 v[0:3], v213
	buffer_load_dword v12, off, s[24:27], 0 offset:64 ; 4-byte Folded Reload
	buffer_load_dword v13, off, s[24:27], 0 offset:68 ; 4-byte Folded Reload
	buffer_load_dword v14, off, s[24:27], 0 offset:72 ; 4-byte Folded Reload
	buffer_load_dword v15, off, s[24:27], 0 offset:76 ; 4-byte Folded Reload
	v_mov_b32_e32 v4, v71
	v_mad_u64_u32 v[48:49], s[6:7], s0, v255, 0
	s_mul_i32 s8, s1, 0x3000
	s_waitcnt vmcnt(0) lgkmcnt(0)
	v_mul_f64 v[5:6], v[14:15], v[2:3]
	v_mul_f64 v[7:8], v[14:15], v[0:1]
	v_mad_u64_u32 v[9:10], s[2:3], s3, v212, v[4:5]
	v_mad_u64_u32 v[10:11], s[2:3], s0, v214, 0
	v_fma_f64 v[4:5], v[12:13], v[0:1], v[5:6]
	v_mov_b32_e32 v71, v9
	v_mov_b32_e32 v0, v11
	v_fma_f64 v[6:7], v[12:13], v[2:3], -v[7:8]
	v_mad_u64_u32 v[8:9], s[2:3], s1, v214, v[0:1]
	ds_read_b128 v[0:3], v213 offset:6144
	buffer_load_dword v16, off, s[24:27], 0 offset:48 ; 4-byte Folded Reload
	buffer_load_dword v17, off, s[24:27], 0 offset:52 ; 4-byte Folded Reload
	;; [unrolled: 1-line block ×4, first 2 shown]
	v_mov_b32_e32 v11, v8
	s_mov_b32 s2, 0x1c71c71c
	s_mov_b32 s3, 0x3f3c71c7
	v_mul_f64 v[4:5], v[4:5], s[2:3]
	v_mul_f64 v[6:7], v[6:7], s[2:3]
	v_lshlrev_b64 v[14:15], 4, v[70:71]
	v_add_co_u32_e32 v50, vcc, s4, v14
	v_mov_b32_e32 v14, s5
	v_addc_co_u32_e32 v51, vcc, v14, v15, vcc
	s_mul_i32 s4, s1, 0x1800
	s_mul_hi_u32 s5, s0, 0x1800
	s_add_i32 s4, s5, s4
	s_mul_i32 s5, s0, 0x1800
	v_mov_b32_e32 v14, s4
	s_waitcnt vmcnt(0) lgkmcnt(0)
	v_mul_f64 v[8:9], v[18:19], v[2:3]
	v_mul_f64 v[12:13], v[18:19], v[0:1]
	v_fma_f64 v[0:1], v[16:17], v[0:1], v[8:9]
	v_lshlrev_b64 v[8:9], 4, v[10:11]
	v_fma_f64 v[2:3], v[16:17], v[2:3], -v[12:13]
	v_add_co_u32_e32 v11, vcc, v50, v8
	v_addc_co_u32_e32 v12, vcc, v51, v9, vcc
	global_store_dwordx4 v[11:12], v[4:7], off
	ds_read_b128 v[4:7], v213 offset:12288
	v_add_co_u32_e32 v13, vcc, s5, v11
	buffer_load_dword v8, off, s[24:27], 0 offset:32 ; 4-byte Folded Reload
	buffer_load_dword v9, off, s[24:27], 0 offset:36 ; 4-byte Folded Reload
	;; [unrolled: 1-line block ×4, first 2 shown]
	v_mul_f64 v[0:1], v[0:1], s[2:3]
	v_mul_f64 v[2:3], v[2:3], s[2:3]
	v_addc_co_u32_e32 v14, vcc, v12, v14, vcc
	v_mov_b32_e32 v12, v49
	global_store_dwordx4 v[13:14], v[0:3], off
	s_waitcnt vmcnt(1) lgkmcnt(0)
	v_mul_f64 v[15:16], v[10:11], v[6:7]
	v_mul_f64 v[17:18], v[10:11], v[4:5]
	v_mov_b32_e32 v53, v9
	v_mov_b32_e32 v52, v8
	ds_read_b128 v[8:11], v213 offset:18432
	v_fma_f64 v[4:5], v[52:53], v[4:5], v[15:16]
	v_fma_f64 v[6:7], v[52:53], v[6:7], -v[17:18]
	v_mul_f64 v[0:1], v[4:5], s[2:3]
	v_mul_f64 v[2:3], v[6:7], s[2:3]
	ds_read_b128 v[4:7], v213 offset:24576
	s_waitcnt lgkmcnt(1)
	v_mul_f64 v[15:16], v[22:23], v[10:11]
	v_mul_f64 v[17:18], v[22:23], v[8:9]
	v_mad_u64_u32 v[22:23], s[6:7], s1, v255, v[12:13]
	v_mad_u64_u32 v[12:13], s[6:7], s0, v254, v[13:14]
	v_mov_b32_e32 v49, v22
	v_lshlrev_b64 v[22:23], 4, v[48:49]
	v_fma_f64 v[8:9], v[20:21], v[8:9], v[15:16]
	v_fma_f64 v[10:11], v[20:21], v[10:11], -v[17:18]
	s_waitcnt lgkmcnt(0)
	v_mul_f64 v[17:18], v[26:27], v[6:7]
	v_mul_f64 v[19:20], v[26:27], v[4:5]
	v_add_co_u32_e32 v15, vcc, v50, v22
	v_addc_co_u32_e32 v16, vcc, v51, v23, vcc
	global_store_dwordx4 v[15:16], v[0:3], off
	v_mad_u64_u32 v[14:15], s[6:7], s0, v221, 0
	v_mul_f64 v[0:1], v[8:9], s[2:3]
	v_mul_f64 v[2:3], v[10:11], s[2:3]
	v_fma_f64 v[8:9], v[24:25], v[4:5], v[17:18]
	v_fma_f64 v[10:11], v[24:25], v[6:7], -v[19:20]
	ds_read_b128 v[4:7], v213 offset:30720
	v_add_u32_e32 v13, s8, v13
	s_waitcnt lgkmcnt(0)
	v_mul_f64 v[16:17], v[34:35], v[6:7]
	v_mul_f64 v[18:19], v[34:35], v[4:5]
	global_store_dwordx4 v[12:13], v[0:3], off
	v_mad_u64_u32 v[12:13], s[6:7], s0, v254, v[12:13]
	v_mul_f64 v[0:1], v[8:9], s[2:3]
	v_mov_b32_e32 v8, v15
	v_mad_u64_u32 v[20:21], s[6:7], s1, v221, v[8:9]
	v_fma_f64 v[4:5], v[32:33], v[4:5], v[16:17]
	v_fma_f64 v[6:7], v[32:33], v[6:7], -v[18:19]
	v_mul_f64 v[2:3], v[10:11], s[2:3]
	v_mov_b32_e32 v15, v20
	ds_read_b128 v[8:11], v213 offset:3072
	v_lshlrev_b64 v[14:15], 4, v[14:15]
	v_add_u32_e32 v13, s8, v13
	v_add_co_u32_e32 v14, vcc, v50, v14
	v_mul_f64 v[4:5], v[4:5], s[2:3]
	v_mul_f64 v[6:7], v[6:7], s[2:3]
	v_addc_co_u32_e32 v15, vcc, v51, v15, vcc
	global_store_dwordx4 v[14:15], v[0:3], off
	s_mulk_i32 s1, 0x9400
	global_store_dwordx4 v[12:13], v[4:7], off
	s_nop 0
	v_mov_b32_e32 v4, 0xffff9400
	v_mad_u64_u32 v[12:13], s[6:7], s0, v4, v[12:13]
	ds_read_b128 v[4:7], v213 offset:15360
	s_waitcnt lgkmcnt(1)
	v_mul_f64 v[16:17], v[30:31], v[10:11]
	v_mul_f64 v[18:19], v[30:31], v[8:9]
	s_sub_i32 s0, s1, s0
	v_add_u32_e32 v13, s0, v13
	v_fma_f64 v[16:17], v[28:29], v[8:9], v[16:17]
	v_fma_f64 v[18:19], v[28:29], v[10:11], -v[18:19]
	ds_read_b128 v[8:11], v213 offset:9216
	s_waitcnt lgkmcnt(0)
	v_mul_f64 v[14:15], v[38:39], v[10:11]
	v_mul_f64 v[20:21], v[38:39], v[8:9]
	;; [unrolled: 1-line block ×5, first 2 shown]
	v_mov_b32_e32 v18, s4
	v_fma_f64 v[8:9], v[36:37], v[8:9], v[14:15]
	v_fma_f64 v[10:11], v[36:37], v[10:11], -v[20:21]
	v_mul_f64 v[14:15], v[42:43], v[6:7]
	global_store_dwordx4 v[12:13], v[0:3], off
	v_fma_f64 v[6:7], v[40:41], v[6:7], -v[16:17]
	v_add_co_u32_e32 v12, vcc, s5, v12
	v_mul_f64 v[0:1], v[8:9], s[2:3]
	v_mul_f64 v[2:3], v[10:11], s[2:3]
	v_fma_f64 v[4:5], v[40:41], v[4:5], v[14:15]
	v_mov_b32_e32 v14, s4
	v_addc_co_u32_e32 v13, vcc, v13, v14, vcc
	ds_read_b128 v[8:11], v213 offset:21504
	global_store_dwordx4 v[12:13], v[0:3], off
	s_nop 0
	v_mul_f64 v[0:1], v[4:5], s[2:3]
	v_mul_f64 v[2:3], v[6:7], s[2:3]
	v_add_co_u32_e32 v12, vcc, s5, v12
	v_addc_co_u32_e32 v13, vcc, v13, v18, vcc
	ds_read_b128 v[4:7], v213 offset:27648
	global_store_dwordx4 v[12:13], v[0:3], off
	ds_read_b128 v[0:3], v213 offset:33792
	buffer_load_dword v18, off, s[24:27], 0 offset:16 ; 4-byte Folded Reload
	buffer_load_dword v19, off, s[24:27], 0 offset:20 ; 4-byte Folded Reload
	;; [unrolled: 1-line block ×4, first 2 shown]
	buffer_load_dword v24, off, s[24:27], 0 ; 4-byte Folded Reload
	buffer_load_dword v25, off, s[24:27], 0 offset:4 ; 4-byte Folded Reload
	buffer_load_dword v26, off, s[24:27], 0 offset:8 ; 4-byte Folded Reload
	;; [unrolled: 1-line block ×3, first 2 shown]
	s_waitcnt lgkmcnt(2)
	v_mul_f64 v[14:15], v[46:47], v[10:11]
	v_mul_f64 v[16:17], v[46:47], v[8:9]
	v_add_co_u32_e32 v12, vcc, s5, v12
	v_fma_f64 v[8:9], v[44:45], v[8:9], v[14:15]
	v_fma_f64 v[10:11], v[44:45], v[10:11], -v[16:17]
	v_mul_f64 v[8:9], v[8:9], s[2:3]
	v_mul_f64 v[10:11], v[10:11], s[2:3]
	s_waitcnt vmcnt(4) lgkmcnt(1)
	v_mul_f64 v[14:15], v[20:21], v[6:7]
	v_mul_f64 v[16:17], v[20:21], v[4:5]
	v_mov_b32_e32 v23, v19
	v_mov_b32_e32 v22, v18
	s_waitcnt vmcnt(0) lgkmcnt(0)
	v_mul_f64 v[18:19], v[26:27], v[2:3]
	v_mul_f64 v[20:21], v[26:27], v[0:1]
	v_fma_f64 v[4:5], v[22:23], v[4:5], v[14:15]
	v_fma_f64 v[6:7], v[22:23], v[6:7], -v[16:17]
	v_mov_b32_e32 v14, s4
	v_addc_co_u32_e32 v13, vcc, v13, v14, vcc
	v_fma_f64 v[14:15], v[24:25], v[0:1], v[18:19]
	v_fma_f64 v[16:17], v[24:25], v[2:3], -v[20:21]
	global_store_dwordx4 v[12:13], v[8:11], off
	v_mul_f64 v[0:1], v[4:5], s[2:3]
	v_mul_f64 v[2:3], v[6:7], s[2:3]
	v_add_co_u32_e32 v8, vcc, s5, v12
	v_mov_b32_e32 v9, s4
	v_mul_f64 v[4:5], v[14:15], s[2:3]
	v_mul_f64 v[6:7], v[16:17], s[2:3]
	v_addc_co_u32_e32 v9, vcc, v13, v9, vcc
	global_store_dwordx4 v[8:9], v[0:3], off
	s_nop 0
	v_add_co_u32_e32 v0, vcc, s5, v8
	v_mov_b32_e32 v1, s4
	v_addc_co_u32_e32 v1, vcc, v9, v1, vcc
	global_store_dwordx4 v[0:1], v[4:7], off
.LBB0_2:
	s_endpgm
	.section	.rodata,"a",@progbits
	.p2align	6, 0x0
	.amdhsa_kernel bluestein_single_back_len2304_dim1_dp_op_CI_CI
		.amdhsa_group_segment_fixed_size 36864
		.amdhsa_private_segment_fixed_size 84
		.amdhsa_kernarg_size 104
		.amdhsa_user_sgpr_count 6
		.amdhsa_user_sgpr_private_segment_buffer 1
		.amdhsa_user_sgpr_dispatch_ptr 0
		.amdhsa_user_sgpr_queue_ptr 0
		.amdhsa_user_sgpr_kernarg_segment_ptr 1
		.amdhsa_user_sgpr_dispatch_id 0
		.amdhsa_user_sgpr_flat_scratch_init 0
		.amdhsa_user_sgpr_private_segment_size 0
		.amdhsa_uses_dynamic_stack 0
		.amdhsa_system_sgpr_private_segment_wavefront_offset 1
		.amdhsa_system_sgpr_workgroup_id_x 1
		.amdhsa_system_sgpr_workgroup_id_y 0
		.amdhsa_system_sgpr_workgroup_id_z 0
		.amdhsa_system_sgpr_workgroup_info 0
		.amdhsa_system_vgpr_workitem_id 0
		.amdhsa_next_free_vgpr 256
		.amdhsa_next_free_sgpr 28
		.amdhsa_reserve_vcc 1
		.amdhsa_reserve_flat_scratch 0
		.amdhsa_float_round_mode_32 0
		.amdhsa_float_round_mode_16_64 0
		.amdhsa_float_denorm_mode_32 3
		.amdhsa_float_denorm_mode_16_64 3
		.amdhsa_dx10_clamp 1
		.amdhsa_ieee_mode 1
		.amdhsa_fp16_overflow 0
		.amdhsa_exception_fp_ieee_invalid_op 0
		.amdhsa_exception_fp_denorm_src 0
		.amdhsa_exception_fp_ieee_div_zero 0
		.amdhsa_exception_fp_ieee_overflow 0
		.amdhsa_exception_fp_ieee_underflow 0
		.amdhsa_exception_fp_ieee_inexact 0
		.amdhsa_exception_int_div_zero 0
	.end_amdhsa_kernel
	.text
.Lfunc_end0:
	.size	bluestein_single_back_len2304_dim1_dp_op_CI_CI, .Lfunc_end0-bluestein_single_back_len2304_dim1_dp_op_CI_CI
                                        ; -- End function
	.section	.AMDGPU.csdata,"",@progbits
; Kernel info:
; codeLenInByte = 14532
; NumSgprs: 32
; NumVgprs: 256
; ScratchSize: 84
; MemoryBound: 0
; FloatMode: 240
; IeeeMode: 1
; LDSByteSize: 36864 bytes/workgroup (compile time only)
; SGPRBlocks: 3
; VGPRBlocks: 63
; NumSGPRsForWavesPerEU: 32
; NumVGPRsForWavesPerEU: 256
; Occupancy: 1
; WaveLimiterHint : 1
; COMPUTE_PGM_RSRC2:SCRATCH_EN: 1
; COMPUTE_PGM_RSRC2:USER_SGPR: 6
; COMPUTE_PGM_RSRC2:TRAP_HANDLER: 0
; COMPUTE_PGM_RSRC2:TGID_X_EN: 1
; COMPUTE_PGM_RSRC2:TGID_Y_EN: 0
; COMPUTE_PGM_RSRC2:TGID_Z_EN: 0
; COMPUTE_PGM_RSRC2:TIDIG_COMP_CNT: 0
	.type	__hip_cuid_1f9b36047943e433,@object ; @__hip_cuid_1f9b36047943e433
	.section	.bss,"aw",@nobits
	.globl	__hip_cuid_1f9b36047943e433
__hip_cuid_1f9b36047943e433:
	.byte	0                               ; 0x0
	.size	__hip_cuid_1f9b36047943e433, 1

	.ident	"AMD clang version 19.0.0git (https://github.com/RadeonOpenCompute/llvm-project roc-6.4.0 25133 c7fe45cf4b819c5991fe208aaa96edf142730f1d)"
	.section	".note.GNU-stack","",@progbits
	.addrsig
	.addrsig_sym __hip_cuid_1f9b36047943e433
	.amdgpu_metadata
---
amdhsa.kernels:
  - .args:
      - .actual_access:  read_only
        .address_space:  global
        .offset:         0
        .size:           8
        .value_kind:     global_buffer
      - .actual_access:  read_only
        .address_space:  global
        .offset:         8
        .size:           8
        .value_kind:     global_buffer
      - .actual_access:  read_only
        .address_space:  global
        .offset:         16
        .size:           8
        .value_kind:     global_buffer
      - .actual_access:  read_only
        .address_space:  global
        .offset:         24
        .size:           8
        .value_kind:     global_buffer
      - .actual_access:  read_only
        .address_space:  global
        .offset:         32
        .size:           8
        .value_kind:     global_buffer
      - .offset:         40
        .size:           8
        .value_kind:     by_value
      - .address_space:  global
        .offset:         48
        .size:           8
        .value_kind:     global_buffer
      - .address_space:  global
        .offset:         56
        .size:           8
        .value_kind:     global_buffer
      - .address_space:  global
        .offset:         64
        .size:           8
        .value_kind:     global_buffer
      - .address_space:  global
        .offset:         72
        .size:           8
        .value_kind:     global_buffer
      - .offset:         80
        .size:           4
        .value_kind:     by_value
      - .address_space:  global
        .offset:         88
        .size:           8
        .value_kind:     global_buffer
      - .address_space:  global
        .offset:         96
        .size:           8
        .value_kind:     global_buffer
    .group_segment_fixed_size: 36864
    .kernarg_segment_align: 8
    .kernarg_segment_size: 104
    .language:       OpenCL C
    .language_version:
      - 2
      - 0
    .max_flat_workgroup_size: 192
    .name:           bluestein_single_back_len2304_dim1_dp_op_CI_CI
    .private_segment_fixed_size: 84
    .sgpr_count:     32
    .sgpr_spill_count: 0
    .symbol:         bluestein_single_back_len2304_dim1_dp_op_CI_CI.kd
    .uniform_work_group_size: 1
    .uses_dynamic_stack: false
    .vgpr_count:     256
    .vgpr_spill_count: 20
    .wavefront_size: 64
amdhsa.target:   amdgcn-amd-amdhsa--gfx906
amdhsa.version:
  - 1
  - 2
...

	.end_amdgpu_metadata
